;; amdgpu-corpus repo=ROCm/rocFFT kind=compiled arch=gfx1201 opt=O3
	.text
	.amdgcn_target "amdgcn-amd-amdhsa--gfx1201"
	.amdhsa_code_object_version 6
	.protected	bluestein_single_back_len1375_dim1_sp_op_CI_CI ; -- Begin function bluestein_single_back_len1375_dim1_sp_op_CI_CI
	.globl	bluestein_single_back_len1375_dim1_sp_op_CI_CI
	.p2align	8
	.type	bluestein_single_back_len1375_dim1_sp_op_CI_CI,@function
bluestein_single_back_len1375_dim1_sp_op_CI_CI: ; @bluestein_single_back_len1375_dim1_sp_op_CI_CI
; %bb.0:
	s_load_b128 s[12:15], s[0:1], 0x28
	v_mul_u32_u24_e32 v1, 0x4a8, v0
	s_mov_b32 s2, exec_lo
	v_mov_b32_e32 v5, 0
	s_delay_alu instid0(VALU_DEP_2) | instskip(NEXT) | instid1(VALU_DEP_1)
	v_lshrrev_b32_e32 v1, 16, v1
	v_add_nc_u32_e32 v4, ttmp9, v1
	s_wait_kmcnt 0x0
	s_delay_alu instid0(VALU_DEP_1)
	v_cmpx_gt_u64_e64 s[12:13], v[4:5]
	s_cbranch_execz .LBB0_15
; %bb.1:
	s_clause 0x1
	s_load_b128 s[4:7], s[0:1], 0x18
	s_load_b64 s[12:13], s[0:1], 0x0
	v_mul_lo_u16 v1, v1, 55
	s_movk_i32 s2, 0xfb55
	s_mov_b32 s3, -1
	s_delay_alu instid0(VALU_DEP_1) | instskip(NEXT) | instid1(VALU_DEP_1)
	v_sub_nc_u16 v48, v0, v1
	v_and_b32_e32 v131, 0xffff, v48
	s_delay_alu instid0(VALU_DEP_1)
	v_lshlrev_b32_e32 v227, 3, v131
	s_wait_kmcnt 0x0
	s_load_b128 s[8:11], s[4:5], 0x0
	s_clause 0x1
	global_load_b64 v[223:224], v227, s[12:13]
	global_load_b64 v[215:216], v227, s[12:13] offset:2000
	v_mov_b32_e32 v5, v4
	s_clause 0x7
	global_load_b64 v[86:87], v227, s[12:13] offset:4000
	global_load_b64 v[80:81], v227, s[12:13] offset:6000
	;; [unrolled: 1-line block ×8, first 2 shown]
	scratch_store_b64 off, v[5:6], off offset:72 ; 8-byte Folded Spill
	s_clause 0xa
	global_load_b64 v[219:220], v227, s[12:13] offset:3000
	global_load_b64 v[70:71], v227, s[12:13] offset:2440
	global_load_b64 v[66:67], v227, s[12:13] offset:5440
	global_load_b64 v[221:222], v227, s[12:13] offset:5000
	global_load_b64 v[68:69], v227, s[12:13] offset:4440
	global_load_b64 v[60:61], v227, s[12:13] offset:7440
	global_load_b64 v[82:83], v227, s[12:13] offset:7000
	global_load_b64 v[62:63], v227, s[12:13] offset:6440
	global_load_b64 v[54:55], v227, s[12:13] offset:9440
	global_load_b64 v[84:85], v227, s[12:13] offset:9000
	global_load_b64 v[56:57], v227, s[12:13] offset:8440
	s_wait_kmcnt 0x0
	v_mad_co_u64_u32 v[0:1], null, s10, v4, 0
	v_mad_co_u64_u32 v[2:3], null, s8, v131, 0
	s_mul_u64 s[4:5], s[8:9], 0x7d
	s_mul_u64 s[2:3], s[8:9], s[2:3]
	s_delay_alu instid0(SALU_CYCLE_1) | instskip(NEXT) | instid1(VALU_DEP_1)
	s_lshl_b64 s[2:3], s[2:3], 3
	v_mad_co_u64_u32 v[4:5], null, s11, v4, v[1:2]
	s_load_b64 s[10:11], s[0:1], 0x38
	s_delay_alu instid0(VALU_DEP_1) | instskip(SKIP_1) | instid1(VALU_DEP_1)
	v_mad_co_u64_u32 v[5:6], null, s9, v131, v[3:4]
	v_mov_b32_e32 v1, v4
	v_lshlrev_b64_e32 v[0:1], 3, v[0:1]
	s_delay_alu instid0(VALU_DEP_3) | instskip(NEXT) | instid1(VALU_DEP_1)
	v_mov_b32_e32 v3, v5
	v_lshlrev_b64_e32 v[4:5], 3, v[2:3]
	s_delay_alu instid0(VALU_DEP_3) | instskip(NEXT) | instid1(VALU_DEP_4)
	v_add_co_u32 v2, vcc_lo, s14, v0
	v_add_co_ci_u32_e32 v3, vcc_lo, s15, v1, vcc_lo
	s_lshl_b64 s[14:15], s[4:5], 3
	s_delay_alu instid0(VALU_DEP_2) | instskip(SKIP_1) | instid1(VALU_DEP_2)
	v_add_co_u32 v0, vcc_lo, v2, v4
	s_wait_alu 0xfffd
	v_add_co_ci_u32_e32 v1, vcc_lo, v3, v5, vcc_lo
	s_wait_alu 0xfffe
	s_delay_alu instid0(VALU_DEP_2) | instskip(SKIP_1) | instid1(VALU_DEP_2)
	v_add_co_u32 v4, vcc_lo, v0, s14
	s_wait_alu 0xfffd
	v_add_co_ci_u32_e32 v5, vcc_lo, s15, v1, vcc_lo
	global_load_b64 v[8:9], v[0:1], off
	v_add_co_u32 v6, vcc_lo, v4, s14
	s_wait_alu 0xfffd
	v_add_co_ci_u32_e32 v7, vcc_lo, s15, v5, vcc_lo
	s_delay_alu instid0(VALU_DEP_2) | instskip(SKIP_1) | instid1(VALU_DEP_2)
	v_add_co_u32 v0, vcc_lo, v6, s14
	s_wait_alu 0xfffd
	v_add_co_ci_u32_e32 v1, vcc_lo, s15, v7, vcc_lo
	s_clause 0x1
	global_load_b64 v[4:5], v[4:5], off
	global_load_b64 v[6:7], v[6:7], off
	v_add_co_u32 v10, vcc_lo, v0, s14
	s_wait_alu 0xfffd
	v_add_co_ci_u32_e32 v11, vcc_lo, s15, v1, vcc_lo
	global_load_b64 v[12:13], v[0:1], off
	v_add_co_u32 v0, vcc_lo, v10, s14
	s_wait_alu 0xfffd
	v_add_co_ci_u32_e32 v1, vcc_lo, s15, v11, vcc_lo
	;; [unrolled: 4-line block ×18, first 2 shown]
	global_load_b64 v[42:43], v[42:43], off
	global_load_b64 v[72:73], v227, s[12:13] offset:10440
	global_load_b64 v[46:47], v[0:1], off
	v_cmp_gt_u16_e32 vcc_lo, 15, v48
	s_load_b128 s[4:7], s[6:7], 0x0
	s_wait_loadcnt 0x29
	scratch_store_b64 off, v[86:87], off offset:140 ; 8-byte Folded Spill
	s_wait_loadcnt 0x15
	v_dual_mul_f32 v49, v8, v224 :: v_dual_mul_f32 v50, v5, v218
	v_or_b32_e32 v48, 0x550, v131
	v_mul_f32_e32 v51, v4, v218
	s_delay_alu instid0(VALU_DEP_3)
	v_fmac_f32_e32 v50, v4, v217
	scratch_store_b32 off, v48, off offset:180 ; 4-byte Folded Spill
	v_mul_f32_e32 v48, v9, v224
	s_wait_loadcnt 0x13
	v_mul_f32_e32 v4, v13, v220
	v_fma_f32 v51, v5, v217, -v51
	v_mul_f32_e32 v5, v6, v216
	s_wait_loadcnt 0x12
	v_dual_mul_f32 v52, v12, v220 :: v_dual_mul_f32 v53, v10, v87
	v_fmac_f32_e32 v48, v8, v223
	v_mul_f32_e32 v8, v7, v216
	v_fmac_f32_e32 v4, v12, v219
	v_add_co_u32 v178, s16, s12, v227
	s_delay_alu instid0(VALU_DEP_1) | instskip(NEXT) | instid1(VALU_DEP_4)
	v_add_co_ci_u32_e64 v179, null, s13, 0, s16
	v_fmac_f32_e32 v8, v6, v215
	v_mul_f32_e32 v6, v11, v87
	v_fma_f32 v49, v9, v223, -v49
	v_fma_f32 v9, v7, v215, -v5
	;; [unrolled: 1-line block ×4, first 2 shown]
	v_fmac_f32_e32 v6, v10, v86
	s_wait_loadcnt 0x11
	v_mul_f32_e32 v10, v17, v222
	s_wait_loadcnt 0x10
	v_dual_mul_f32 v11, v16, v222 :: v_dual_mul_f32 v12, v15, v81
	ds_store_b64 v227, v[50:51] offset:1000
	ds_store_b64 v227, v[8:9] offset:2000
	;; [unrolled: 1-line block ×4, first 2 shown]
	s_wait_loadcnt 0xf
	v_dual_mul_f32 v5, v14, v81 :: v_dual_mul_f32 v4, v21, v83
	v_mul_f32_e32 v7, v20, v83
	s_wait_loadcnt 0xe
	v_mul_f32_e32 v6, v19, v79
	v_mul_f32_e32 v8, v18, v79
	v_fma_f32 v11, v17, v221, -v11
	s_wait_loadcnt 0xd
	v_mul_f32_e32 v9, v24, v85
	v_fmac_f32_e32 v10, v16, v221
	v_fmac_f32_e32 v12, v14, v80
	v_fma_f32 v13, v15, v80, -v5
	v_fmac_f32_e32 v4, v20, v82
	v_fma_f32 v5, v21, v82, -v7
	;; [unrolled: 2-line block ×3, first 2 shown]
	v_mul_f32_e32 v8, v25, v85
	s_clause 0x2
	scratch_store_b64 off, v[80:81], off offset:116
	scratch_store_b64 off, v[82:83], off offset:124
	;; [unrolled: 1-line block ×3, first 2 shown]
	ds_store_b64 v227, v[10:11] offset:5000
	ds_store_b64 v227, v[12:13] offset:6000
	;; [unrolled: 1-line block ×4, first 2 shown]
	s_wait_loadcnt 0xc
	v_mul_f32_e32 v4, v23, v77
	s_wait_loadcnt 0xb
	v_dual_mul_f32 v5, v22, v77 :: v_dual_mul_f32 v6, v29, v75
	v_mul_f32_e32 v7, v28, v75
	v_fmac_f32_e32 v8, v24, v84
	v_fma_f32 v9, v25, v84, -v9
	v_fmac_f32_e32 v4, v22, v76
	v_fma_f32 v5, v23, v76, -v5
	;; [unrolled: 2-line block ×3, first 2 shown]
	s_wait_loadcnt 0xa
	v_mul_f32_e32 v10, v27, v65
	v_mul_f32_e32 v11, v26, v65
	s_clause 0x2
	scratch_store_b64 off, v[84:85], off offset:132
	scratch_store_b64 off, v[76:77], off offset:100
	;; [unrolled: 1-line block ×3, first 2 shown]
	ds_store_b64 v227, v[8:9] offset:9000
	ds_store_b64 v227, v[4:5] offset:10000
	s_wait_loadcnt 0x9
	v_mul_f32_e32 v4, v33, v71
	s_wait_loadcnt 0x7
	v_dual_mul_f32 v5, v32, v71 :: v_dual_mul_f32 v8, v37, v69
	v_dual_mul_f32 v9, v36, v69 :: v_dual_fmac_f32 v10, v26, v64
	v_fma_f32 v11, v27, v64, -v11
	v_fmac_f32_e32 v4, v32, v70
	s_delay_alu instid0(VALU_DEP_4)
	v_fma_f32 v5, v33, v70, -v5
	v_fmac_f32_e32 v8, v36, v68
	v_fma_f32 v9, v37, v68, -v9
	s_wait_loadcnt 0x6
	v_mul_f32_e32 v12, v35, v67
	v_mul_f32_e32 v13, v34, v67
	s_clause 0x3
	scratch_store_b64 off, v[64:65], off offset:40
	scratch_store_b64 off, v[68:69], off offset:56
	;; [unrolled: 1-line block ×4, first 2 shown]
	v_fmac_f32_e32 v12, v34, v66
	v_fma_f32 v13, v35, v66, -v13
	s_wait_loadcnt 0x0
	v_mul_f32_e32 v15, v46, v73
	ds_store_2addr_b64 v227, v[48:49], v[6:7] offset1:55
	v_mul_f32_e32 v6, v31, v59
	v_dual_mul_f32 v7, v30, v59 :: v_dual_mul_f32 v14, v47, v73
	v_fma_f32 v15, v47, v72, -v15
	s_delay_alu instid0(VALU_DEP_3) | instskip(NEXT) | instid1(VALU_DEP_3)
	v_fmac_f32_e32 v6, v30, v58
	v_fma_f32 v7, v31, v58, -v7
	ds_store_b64 v227, v[10:11] offset:1440
	ds_store_b64 v227, v[4:5] offset:2440
	ds_store_b64 v227, v[6:7] offset:3440
	ds_store_b64 v227, v[8:9] offset:4440
	v_mul_f32_e32 v4, v41, v63
	v_dual_mul_f32 v5, v40, v63 :: v_dual_mul_f32 v6, v39, v61
	v_mul_f32_e32 v7, v38, v61
	v_mul_f32_e32 v8, v45, v57
	v_dual_mul_f32 v9, v44, v57 :: v_dual_mul_f32 v10, v43, v55
	v_dual_mul_f32 v11, v42, v55 :: v_dual_fmac_f32 v4, v40, v62
	v_fma_f32 v5, v41, v62, -v5
	v_fmac_f32_e32 v6, v38, v60
	v_fma_f32 v7, v39, v60, -v7
	v_fmac_f32_e32 v8, v44, v56
	;; [unrolled: 2-line block ×3, first 2 shown]
	v_fma_f32 v11, v43, v54, -v11
	s_clause 0x5
	scratch_store_b64 off, v[66:67], off offset:48
	scratch_store_b64 off, v[72:73], off offset:80
	;; [unrolled: 1-line block ×5, first 2 shown]
	scratch_store_b64 off, v[54:55], off
	v_fmac_f32_e32 v14, v46, v72
	ds_store_b64 v227, v[12:13] offset:5440
	ds_store_b64 v227, v[4:5] offset:6440
	;; [unrolled: 1-line block ×6, first 2 shown]
	s_and_saveexec_b32 s16, vcc_lo
	s_cbranch_execz .LBB0_3
; %bb.2:
	v_add_co_u32 v0, s2, v0, s2
	s_wait_alu 0xf1ff
	v_add_co_ci_u32_e64 v1, s2, s3, v1, s2
	v_or_b32_e32 v20, 0x550, v131
	s_delay_alu instid0(VALU_DEP_3) | instskip(SKIP_1) | instid1(VALU_DEP_3)
	v_add_co_u32 v4, s2, v0, s14
	s_wait_alu 0xf1ff
	v_add_co_ci_u32_e64 v5, s2, s15, v1, s2
	global_load_b64 v[0:1], v[0:1], off
	v_add_co_u32 v6, s2, v4, s14
	s_wait_alu 0xf1ff
	v_add_co_ci_u32_e64 v7, s2, s15, v5, s2
	global_load_b64 v[4:5], v[4:5], off
	v_add_co_u32 v8, s2, v6, s14
	s_wait_alu 0xf1ff
	v_add_co_ci_u32_e64 v9, s2, s15, v7, s2
	s_clause 0x1
	global_load_b64 v[12:13], v[178:179], off offset:880
	global_load_b64 v[14:15], v[178:179], off offset:1880
	global_load_b64 v[6:7], v[6:7], off
	global_load_b64 v[16:17], v[8:9], off
	v_mad_co_u64_u32 v[10:11], null, s8, v20, 0
	v_add_co_u32 v8, s2, v8, s14
	s_wait_alu 0xf1ff
	v_add_co_ci_u32_e64 v9, s2, s15, v9, s2
	v_add_nc_u32_e32 v47, 0x800, v227
	s_delay_alu instid0(VALU_DEP_3) | instskip(SKIP_1) | instid1(VALU_DEP_3)
	v_add_co_u32 v18, s2, v8, s14
	s_wait_alu 0xf1ff
	v_add_co_ci_u32_e64 v19, s2, s15, v9, s2
	v_add_nc_u32_e32 v48, 0x1000, v227
	s_wait_loadcnt 0x3
	v_mad_co_u64_u32 v[20:21], null, s9, v20, v[11:12]
	v_add_co_u32 v21, s2, v18, s14
	s_wait_alu 0xf1ff
	v_add_co_ci_u32_e64 v22, s2, s15, v19, s2
	s_clause 0x1
	global_load_b64 v[23:24], v[178:179], off offset:2880
	global_load_b64 v[25:26], v[178:179], off offset:3880
	global_load_b64 v[8:9], v[8:9], off
	global_load_b64 v[18:19], v[18:19], off
	;; [unrolled: 1-line block ×3, first 2 shown]
	v_mul_f32_e32 v45, v1, v13
	v_mov_b32_e32 v11, v20
	v_add_co_u32 v20, s2, v21, s14
	s_wait_alu 0xf1ff
	v_add_co_ci_u32_e64 v21, s2, s15, v22, s2
	s_delay_alu instid0(VALU_DEP_3)
	v_lshlrev_b64_e32 v[10:11], 3, v[10:11]
	s_clause 0x2
	global_load_b64 v[29:30], v[178:179], off offset:4880
	global_load_b64 v[31:32], v[178:179], off offset:5880
	;; [unrolled: 1-line block ×3, first 2 shown]
	global_load_b64 v[35:36], v[20:21], off
	s_wait_loadcnt 0xb
	v_dual_mul_f32 v22, v0, v13 :: v_dual_mul_f32 v13, v5, v15
	v_fmac_f32_e32 v45, v0, v12
	v_mul_f32_e32 v15, v4, v15
	v_add_co_u32 v2, s2, v2, v10
	s_wait_alu 0xf1ff
	v_add_co_ci_u32_e64 v3, s2, v3, v11, s2
	v_add_co_u32 v10, s2, v20, s14
	s_wait_alu 0xf1ff
	v_add_co_ci_u32_e64 v11, s2, s15, v21, s2
	global_load_b64 v[2:3], v[2:3], off
	s_clause 0x1
	global_load_b64 v[20:21], v[178:179], off offset:10880
	global_load_b64 v[37:38], v[178:179], off offset:7880
	v_add_co_u32 v39, s2, v10, s14
	s_wait_alu 0xf1ff
	v_add_co_ci_u32_e64 v40, s2, s15, v11, s2
	global_load_b64 v[10:11], v[10:11], off
	s_clause 0x1
	global_load_b64 v[41:42], v[178:179], off offset:8880
	global_load_b64 v[43:44], v[178:179], off offset:9880
	global_load_b64 v[39:40], v[39:40], off
	v_add_nc_u32_e32 v49, 0x1800, v227
	v_fma_f32 v46, v1, v12, -v22
	s_wait_loadcnt 0xf
	v_dual_mul_f32 v0, v7, v24 :: v_dual_fmac_f32 v13, v4, v14
	s_wait_loadcnt 0xe
	v_dual_mul_f32 v1, v6, v24 :: v_dual_mul_f32 v4, v17, v26
	v_fma_f32 v14, v5, v14, -v15
	s_delay_alu instid0(VALU_DEP_3) | instskip(SKIP_1) | instid1(VALU_DEP_4)
	v_dual_fmac_f32 v0, v6, v23 :: v_dual_mul_f32 v5, v16, v26
	v_add_nc_u32_e32 v24, 0x2000, v227
	v_fmac_f32_e32 v4, v16, v25
	s_wait_loadcnt 0xa
	v_mul_f32_e32 v6, v9, v30
	s_wait_loadcnt 0x9
	v_mul_f32_e32 v12, v19, v32
	ds_store_2addr_b64 v227, v[45:46], v[13:14] offset0:110 offset1:235
	v_mul_f32_e32 v13, v18, v32
	v_fma_f32 v5, v17, v25, -v5
	v_fmac_f32_e32 v6, v8, v29
	v_fma_f32 v1, v7, v23, -v1
	v_dual_mul_f32 v7, v8, v30 :: v_dual_fmac_f32 v12, v18, v31
	s_wait_loadcnt 0x8
	v_mul_f32_e32 v8, v28, v34
	v_fma_f32 v13, v19, v31, -v13
	s_delay_alu instid0(VALU_DEP_3) | instskip(NEXT) | instid1(VALU_DEP_3)
	v_fma_f32 v7, v9, v29, -v7
	v_fmac_f32_e32 v8, v27, v33
	s_wait_loadcnt 0x5
	v_mul_f32_e32 v14, v3, v21
	s_wait_loadcnt 0x4
	v_dual_mul_f32 v15, v2, v21 :: v_dual_mul_f32 v16, v36, v38
	s_wait_loadcnt 0x2
	v_mul_f32_e32 v18, v11, v42
	v_mul_f32_e32 v17, v35, v38
	s_wait_loadcnt 0x0
	v_mul_f32_e32 v21, v40, v44
	v_dual_mul_f32 v9, v27, v34 :: v_dual_fmac_f32 v14, v2, v20
	v_mul_f32_e32 v2, v10, v42
	v_mul_f32_e32 v22, v39, v44
	s_delay_alu instid0(VALU_DEP_4) | instskip(NEXT) | instid1(VALU_DEP_4)
	v_fmac_f32_e32 v21, v39, v43
	v_fma_f32 v9, v28, v33, -v9
	v_fmac_f32_e32 v16, v35, v37
	v_fmac_f32_e32 v18, v10, v41
	v_fma_f32 v17, v36, v37, -v17
	v_fma_f32 v19, v11, v41, -v2
	;; [unrolled: 1-line block ×4, first 2 shown]
	ds_store_2addr_b64 v47, v[0:1], v[4:5] offset0:104 offset1:229
	ds_store_2addr_b64 v48, v[6:7], v[12:13] offset0:98 offset1:223
	;; [unrolled: 1-line block ×4, first 2 shown]
	ds_store_b64 v227, v[14:15] offset:10880
.LBB0_3:
	s_wait_alu 0xfffe
	s_or_b32 exec_lo, exec_lo, s16
	v_add_nc_u32_e32 v0, 0x400, v227
	v_add_nc_u32_e32 v5, 0x800, v227
	;; [unrolled: 1-line block ×4, first 2 shown]
	global_wb scope:SCOPE_SE
	s_wait_storecnt_dscnt 0x0
	s_wait_kmcnt 0x0
	s_barrier_signal -1
	s_barrier_wait -1
	global_inv scope:SCOPE_SE
	ds_load_2addr_b64 v[44:47], v227 offset1:55
	ds_load_2addr_b64 v[56:59], v227 offset0:125 offset1:180
	ds_load_2addr_b64 v[48:51], v0 offset0:122 offset1:177
	;; [unrolled: 1-line block ×5, first 2 shown]
	v_add_nc_u32_e32 v0, 0x1400, v227
	v_add_nc_u32_e32 v7, 0x1800, v227
	;; [unrolled: 1-line block ×5, first 2 shown]
	ds_load_2addr_b64 v[16:19], v0 offset0:110 offset1:165
	ds_load_2addr_b64 v[24:27], v7 offset0:107 offset1:162
	;; [unrolled: 1-line block ×5, first 2 shown]
	s_load_b64 s[0:1], s[0:1], 0x8
	v_mov_b32_e32 v0, 0
	v_mov_b32_e32 v1, 0
                                        ; implicit-def: $vgpr4
                                        ; implicit-def: $vgpr8
                                        ; implicit-def: $vgpr64
                                        ; implicit-def: $vgpr30
                                        ; implicit-def: $vgpr34
	s_and_saveexec_b32 s2, vcc_lo
	s_cbranch_execz .LBB0_5
; %bb.4:
	ds_load_2addr_b64 v[0:3], v227 offset0:110 offset1:235
	ds_load_2addr_b64 v[32:35], v5 offset0:104 offset1:229
	;; [unrolled: 1-line block ×5, first 2 shown]
	ds_load_b64 v[64:65], v227 offset:10880
.LBB0_5:
	s_wait_alu 0xfffe
	s_or_b32 exec_lo, exec_lo, s2
	s_wait_dscnt 0x9
	v_dual_add_f32 v66, v44, v56 :: v_dual_add_f32 v67, v45, v57
	v_add_co_u32 v115, s2, v131, 55
	s_wait_alu 0xf1ff
	v_add_co_ci_u32_e64 v68, null, 0, 0, s2
	s_wait_dscnt 0x8
	v_dual_add_f32 v66, v66, v48 :: v_dual_add_f32 v67, v67, v49
	s_wait_dscnt 0x0
	v_dual_add_f32 v68, v60, v56 :: v_dual_sub_f32 v69, v57, v61
	v_dual_sub_f32 v70, v56, v60 :: v_dual_add_f32 v71, v61, v57
	s_delay_alu instid0(VALU_DEP_3) | instskip(NEXT) | instid1(VALU_DEP_2)
	v_dual_add_f32 v66, v66, v36 :: v_dual_add_f32 v67, v67, v37
	v_dual_mul_f32 v72, 0xbf68dda4, v69 :: v_dual_mul_f32 v73, 0xbf68dda4, v70
	v_dual_mul_f32 v82, 0xbf4178ce, v70 :: v_dual_add_f32 v87, v52, v48
	s_delay_alu instid0(VALU_DEP_3) | instskip(SKIP_1) | instid1(VALU_DEP_4)
	v_dual_add_f32 v66, v66, v20 :: v_dual_add_f32 v67, v67, v21
	v_mul_f32_e32 v56, 0xbf0a6770, v69
	v_fma_f32 v77, 0x3ed4b147, v68, -v72
	v_sub_f32_e32 v92, v34, v8
	s_delay_alu instid0(VALU_DEP_4) | instskip(SKIP_2) | instid1(VALU_DEP_3)
	v_dual_add_f32 v57, v66, v12 :: v_dual_add_f32 v66, v67, v13
	v_mul_f32_e32 v67, 0xbf0a6770, v70
	v_fma_f32 v75, 0x3f575c64, v68, -v56
	v_dual_sub_f32 v98, v28, v6 :: v_dual_add_f32 v57, v57, v16
	s_delay_alu instid0(VALU_DEP_4) | instskip(NEXT) | instid1(VALU_DEP_3)
	v_add_f32_e32 v66, v66, v17
	v_dual_mul_f32 v74, 0xbf7d64f0, v69 :: v_dual_add_f32 v75, v44, v75
	v_sub_f32_e32 v116, v30, v4
	s_delay_alu instid0(VALU_DEP_3) | instskip(SKIP_3) | instid1(VALU_DEP_4)
	v_dual_add_f32 v57, v57, v24 :: v_dual_add_f32 v66, v66, v25
	v_fmamk_f32 v76, v71, 0x3f575c64, v67
	v_fma_f32 v67, 0x3f575c64, v71, -v67
	v_fmac_f32_e32 v56, 0x3f575c64, v68
	v_dual_add_f32 v57, v57, v40 :: v_dual_add_f32 v66, v66, v41
	s_delay_alu instid0(VALU_DEP_4) | instskip(NEXT) | instid1(VALU_DEP_4)
	v_dual_add_f32 v76, v45, v76 :: v_dual_add_f32 v77, v44, v77
	v_dual_add_f32 v67, v45, v67 :: v_dual_fmamk_f32 v78, v71, 0x3ed4b147, v73
	s_delay_alu instid0(VALU_DEP_4) | instskip(NEXT) | instid1(VALU_DEP_4)
	v_add_f32_e32 v79, v44, v56
	v_dual_add_f32 v57, v57, v52 :: v_dual_add_f32 v66, v66, v53
	v_sub_f32_e32 v48, v48, v52
	v_sub_f32_e32 v86, v49, v53
	v_add_f32_e32 v49, v53, v49
	s_delay_alu instid0(VALU_DEP_4)
	v_dual_add_f32 v56, v57, v60 :: v_dual_add_f32 v57, v66, v61
	v_fma_f32 v60, 0x3ed4b147, v71, -v73
	v_fma_f32 v66, 0xbe11bafb, v68, -v74
	v_mul_f32_e32 v73, 0xbf7d64f0, v70
	v_fmac_f32_e32 v74, 0xbe11bafb, v68
	v_mul_f32_e32 v70, 0xbe903f40, v70
	v_add_f32_e32 v61, v45, v78
	v_dual_add_f32 v66, v44, v66 :: v_dual_fmamk_f32 v83, v71, 0xbf27a4f4, v82
	v_mul_f32_e32 v78, 0xbf4178ce, v69
	s_delay_alu instid0(VALU_DEP_4)
	v_dual_add_f32 v74, v44, v74 :: v_dual_fmamk_f32 v85, v71, 0xbf75a155, v70
	v_fmamk_f32 v80, v71, 0xbe11bafb, v73
	v_mul_f32_e32 v69, 0xbe903f40, v69
	v_fma_f32 v82, 0xbf27a4f4, v71, -v82
	v_add_f32_e32 v83, v45, v83
	v_add_f32_e32 v85, v45, v85
	v_fma_f32 v81, 0xbf27a4f4, v68, -v78
	v_add_f32_e32 v80, v45, v80
	v_fmac_f32_e32 v78, 0xbf27a4f4, v68
	v_fma_f32 v73, 0xbe11bafb, v71, -v73
	v_fmac_f32_e32 v72, 0x3ed4b147, v68
	v_fma_f32 v84, 0xbf75a155, v68, -v69
	v_dual_add_f32 v82, v45, v82 :: v_dual_mul_f32 v53, 0xbf68dda4, v48
	v_dual_add_f32 v78, v44, v78 :: v_dual_fmac_f32 v69, 0xbf75a155, v68
	v_dual_add_f32 v60, v45, v60 :: v_dual_add_f32 v81, v44, v81
	v_dual_add_f32 v73, v45, v73 :: v_dual_add_f32 v72, v44, v72
	v_add_f32_e32 v84, v44, v84
	s_delay_alu instid0(VALU_DEP_4)
	v_dual_add_f32 v44, v44, v69 :: v_dual_fmamk_f32 v69, v49, 0x3ed4b147, v53
	v_mul_f32_e32 v52, 0xbf68dda4, v86
	v_fma_f32 v68, 0xbf75a155, v71, -v70
	v_fma_f32 v53, 0x3ed4b147, v49, -v53
	v_mul_f32_e32 v120, 0xbf4178ce, v116
	v_add_f32_e32 v69, v69, v76
	v_fma_f32 v70, 0x3ed4b147, v87, -v52
	v_dual_add_f32 v45, v45, v68 :: v_dual_fmac_f32 v52, 0x3ed4b147, v87
	v_add_f32_e32 v53, v53, v67
	v_add_co_u32 v114, null, 0x6e, v131
	s_delay_alu instid0(VALU_DEP_4) | instskip(NEXT) | instid1(VALU_DEP_4)
	v_dual_add_f32 v70, v70, v75 :: v_dual_mul_f32 v75, 0xbf4178ce, v48
	v_add_f32_e32 v52, v52, v79
	global_wb scope:SCOPE_SE
	s_wait_kmcnt 0x0
	s_barrier_signal -1
	s_barrier_wait -1
	v_fmamk_f32 v76, v49, 0xbf27a4f4, v75
	v_mul_f32_e32 v68, 0xbf4178ce, v86
	v_fma_f32 v75, 0xbf27a4f4, v49, -v75
	global_inv scope:SCOPE_SE
	v_sub_f32_e32 v97, v29, v7
	v_add_f32_e32 v61, v76, v61
	v_fma_f32 v71, 0xbf27a4f4, v87, -v68
	v_dual_add_f32 v60, v75, v60 :: v_dual_mul_f32 v75, 0x3f7d64f0, v86
	s_delay_alu instid0(VALU_DEP_4) | instskip(SKIP_1) | instid1(VALU_DEP_4)
	v_mul_f32_e32 v110, 0xbf0a6770, v97
	v_sub_f32_e32 v113, v31, v5
	v_add_f32_e32 v67, v71, v77
	v_mul_f32_e32 v71, 0x3e903f40, v86
	v_mul_f32_e32 v77, 0x3e903f40, v48
	s_delay_alu instid0(VALU_DEP_4) | instskip(NEXT) | instid1(VALU_DEP_3)
	v_mul_f32_e32 v119, 0xbf4178ce, v113
	v_fma_f32 v79, 0xbf75a155, v87, -v71
	s_delay_alu instid0(VALU_DEP_3) | instskip(SKIP_1) | instid1(VALU_DEP_3)
	v_fma_f32 v76, 0xbf75a155, v49, -v77
	v_fmac_f32_e32 v68, 0xbf27a4f4, v87
	v_dual_fmac_f32 v71, 0xbf75a155, v87 :: v_dual_add_f32 v66, v79, v66
	v_fma_f32 v79, 0xbe11bafb, v87, -v75
	s_delay_alu instid0(VALU_DEP_4) | instskip(NEXT) | instid1(VALU_DEP_4)
	v_add_f32_e32 v73, v76, v73
	v_dual_add_f32 v68, v68, v72 :: v_dual_fmac_f32 v75, 0xbe11bafb, v87
	v_fmamk_f32 v72, v49, 0xbf75a155, v77
	v_mul_f32_e32 v77, 0x3f7d64f0, v48
	v_dual_mul_f32 v48, 0x3f0a6770, v48 :: v_dual_add_f32 v71, v71, v74
	v_dual_mul_f32 v74, 0x3f0a6770, v86 :: v_dual_add_f32 v79, v79, v81
	v_add_f32_e32 v75, v75, v78
	s_delay_alu instid0(VALU_DEP_3)
	v_fmamk_f32 v81, v49, 0x3f575c64, v48
	v_fma_f32 v48, 0x3f575c64, v49, -v48
	v_fmamk_f32 v76, v49, 0xbe11bafb, v77
	v_fma_f32 v77, 0xbe11bafb, v49, -v77
	v_add_f32_e32 v72, v72, v80
	v_fma_f32 v80, 0x3f575c64, v87, -v74
	v_dual_add_f32 v45, v48, v45 :: v_dual_sub_f32 v86, v51, v55
	s_delay_alu instid0(VALU_DEP_4) | instskip(SKIP_1) | instid1(VALU_DEP_4)
	v_dual_add_f32 v77, v77, v82 :: v_dual_sub_f32 v82, v36, v40
	v_add_f32_e32 v76, v76, v83
	v_add_f32_e32 v78, v80, v84
	v_sub_f32_e32 v80, v37, v41
	v_add_f32_e32 v37, v41, v37
	v_mul_f32_e32 v83, 0x3f68dda4, v82
	v_dual_mul_f32 v41, 0xbf7d64f0, v82 :: v_dual_add_f32 v36, v40, v36
	s_delay_alu instid0(VALU_DEP_4) | instskip(NEXT) | instid1(VALU_DEP_2)
	v_dual_mul_f32 v40, 0xbf7d64f0, v80 :: v_dual_add_f32 v49, v81, v85
	v_fmamk_f32 v48, v37, 0xbe11bafb, v41
	v_fma_f32 v41, 0xbe11bafb, v37, -v41
	v_dual_fmac_f32 v74, 0x3f575c64, v87 :: v_dual_add_f32 v87, v54, v50
	s_delay_alu instid0(VALU_DEP_3) | instskip(NEXT) | instid1(VALU_DEP_2)
	v_add_f32_e32 v48, v48, v69
	v_dual_add_f32 v41, v41, v53 :: v_dual_add_f32 v44, v74, v44
	v_mul_f32_e32 v74, 0x3e903f40, v80
	s_delay_alu instid0(VALU_DEP_1) | instskip(NEXT) | instid1(VALU_DEP_1)
	v_fma_f32 v69, 0xbf75a155, v36, -v74
	v_add_f32_e32 v53, v69, v67
	v_fma_f32 v81, 0xbe11bafb, v36, -v40
	v_fmac_f32_e32 v74, 0xbf75a155, v36
	s_delay_alu instid0(VALU_DEP_2) | instskip(SKIP_1) | instid1(VALU_DEP_1)
	v_add_f32_e32 v70, v81, v70
	v_mul_f32_e32 v81, 0x3e903f40, v82
	v_fmamk_f32 v67, v37, 0xbf75a155, v81
	v_fma_f32 v69, 0xbf75a155, v37, -v81
	s_delay_alu instid0(VALU_DEP_2)
	v_add_f32_e32 v61, v67, v61
	v_add_f32_e32 v67, v74, v68
	v_fma_f32 v74, 0x3ed4b147, v37, -v83
	v_fmac_f32_e32 v40, 0xbe11bafb, v36
	v_add_f32_e32 v60, v69, v60
	v_fmamk_f32 v68, v37, 0x3ed4b147, v83
	v_mul_f32_e32 v69, 0xbf0a6770, v80
	s_delay_alu instid0(VALU_DEP_4) | instskip(SKIP_1) | instid1(VALU_DEP_4)
	v_add_f32_e32 v40, v40, v52
	v_mul_f32_e32 v52, 0x3f68dda4, v80
	v_add_f32_e32 v68, v68, v72
	s_delay_alu instid0(VALU_DEP_4) | instskip(SKIP_1) | instid1(VALU_DEP_4)
	v_fma_f32 v72, 0x3f575c64, v36, -v69
	v_fmac_f32_e32 v69, 0x3f575c64, v36
	v_fma_f32 v81, 0x3ed4b147, v36, -v52
	s_delay_alu instid0(VALU_DEP_3) | instskip(NEXT) | instid1(VALU_DEP_3)
	v_add_f32_e32 v72, v72, v79
	v_add_f32_e32 v69, v69, v75
	s_delay_alu instid0(VALU_DEP_3) | instskip(SKIP_1) | instid1(VALU_DEP_1)
	v_add_f32_e32 v66, v81, v66
	v_mul_f32_e32 v81, 0xbf0a6770, v82
	v_fma_f32 v79, 0x3f575c64, v37, -v81
	s_delay_alu instid0(VALU_DEP_1)
	v_dual_add_f32 v75, v79, v77 :: v_dual_fmac_f32 v52, 0x3ed4b147, v36
	v_sub_f32_e32 v77, v21, v25
	v_add_f32_e32 v21, v25, v21
	v_add_f32_e32 v79, v24, v20
	v_sub_f32_e32 v20, v20, v24
	v_dual_add_f32 v52, v52, v71 :: v_dual_add_f32 v71, v74, v73
	v_fmamk_f32 v73, v37, 0x3f575c64, v81
	v_mul_f32_e32 v74, 0xbf4178ce, v80
	s_delay_alu instid0(VALU_DEP_4) | instskip(NEXT) | instid1(VALU_DEP_3)
	v_dual_mul_f32 v80, 0xbf4178ce, v82 :: v_dual_mul_f32 v25, 0xbf4178ce, v20
	v_dual_mul_f32 v24, 0xbf4178ce, v77 :: v_dual_add_f32 v73, v73, v76
	s_delay_alu instid0(VALU_DEP_3) | instskip(SKIP_1) | instid1(VALU_DEP_4)
	v_fma_f32 v76, 0xbf27a4f4, v36, -v74
	v_fmac_f32_e32 v74, 0xbf27a4f4, v36
	v_fma_f32 v36, 0xbf27a4f4, v37, -v80
	s_delay_alu instid0(VALU_DEP_1) | instskip(SKIP_1) | instid1(VALU_DEP_2)
	v_dual_add_f32 v36, v36, v45 :: v_dual_fmamk_f32 v45, v21, 0xbf27a4f4, v25
	v_fma_f32 v25, 0xbf27a4f4, v21, -v25
	v_dual_add_f32 v76, v76, v78 :: v_dual_add_f32 v45, v45, v48
	s_delay_alu instid0(VALU_DEP_2) | instskip(SKIP_2) | instid1(VALU_DEP_1)
	v_add_f32_e32 v25, v25, v41
	v_fmamk_f32 v78, v37, 0xbf27a4f4, v80
	v_fma_f32 v37, 0xbf27a4f4, v79, -v24
	v_dual_mul_f32 v48, 0x3f7d64f0, v20 :: v_dual_add_f32 v37, v37, v70
	v_mul_f32_e32 v70, 0x3f7d64f0, v77
	s_delay_alu instid0(VALU_DEP_2) | instskip(SKIP_1) | instid1(VALU_DEP_2)
	v_fmamk_f32 v41, v21, 0xbe11bafb, v48
	v_fma_f32 v48, 0xbe11bafb, v21, -v48
	v_dual_add_f32 v41, v41, v61 :: v_dual_add_f32 v44, v74, v44
	s_delay_alu instid0(VALU_DEP_4) | instskip(SKIP_2) | instid1(VALU_DEP_3)
	v_fma_f32 v74, 0xbe11bafb, v79, -v70
	v_fmac_f32_e32 v70, 0xbe11bafb, v79
	v_mul_f32_e32 v61, 0xbf0a6770, v20
	v_add_f32_e32 v53, v74, v53
	s_delay_alu instid0(VALU_DEP_3) | instskip(SKIP_4) | instid1(VALU_DEP_4)
	v_add_f32_e32 v67, v70, v67
	v_dual_fmac_f32 v24, 0xbf27a4f4, v79 :: v_dual_add_f32 v49, v78, v49
	v_add_f32_e32 v48, v48, v60
	v_fmamk_f32 v70, v21, 0x3f575c64, v61
	v_fma_f32 v61, 0x3f575c64, v21, -v61
	v_add_f32_e32 v24, v24, v40
	v_mul_f32_e32 v40, 0xbf0a6770, v77
	s_delay_alu instid0(VALU_DEP_3) | instskip(NEXT) | instid1(VALU_DEP_2)
	v_dual_add_f32 v68, v70, v68 :: v_dual_add_f32 v61, v61, v71
	v_fma_f32 v74, 0x3f575c64, v79, -v40
	v_fmac_f32_e32 v40, 0x3f575c64, v79
	s_delay_alu instid0(VALU_DEP_2) | instskip(SKIP_2) | instid1(VALU_DEP_4)
	v_add_f32_e32 v60, v74, v66
	v_mul_f32_e32 v66, 0xbe903f40, v77
	v_mul_f32_e32 v74, 0xbe903f40, v20
	v_add_f32_e32 v70, v40, v52
	v_mul_f32_e32 v52, 0x3f68dda4, v77
	v_mul_f32_e32 v20, 0x3f68dda4, v20
	v_fma_f32 v78, 0xbf75a155, v79, -v66
	s_delay_alu instid0(VALU_DEP_1) | instskip(NEXT) | instid1(VALU_DEP_1)
	v_dual_fmamk_f32 v40, v21, 0xbf75a155, v74 :: v_dual_add_f32 v71, v78, v72
	v_add_f32_e32 v72, v40, v73
	v_fma_f32 v73, 0x3ed4b147, v79, -v52
	v_fma_f32 v40, 0xbf75a155, v21, -v74
	s_delay_alu instid0(VALU_DEP_2) | instskip(SKIP_1) | instid1(VALU_DEP_3)
	v_add_f32_e32 v73, v73, v76
	v_add_f32_e32 v76, v16, v12
	v_dual_fmamk_f32 v74, v21, 0x3ed4b147, v20 :: v_dual_add_f32 v75, v40, v75
	s_delay_alu instid0(VALU_DEP_1) | instskip(SKIP_2) | instid1(VALU_DEP_1)
	v_add_f32_e32 v74, v74, v49
	v_sub_f32_e32 v12, v12, v16
	v_fma_f32 v16, 0x3ed4b147, v21, -v20
	v_dual_add_f32 v77, v16, v36 :: v_dual_fmac_f32 v66, 0xbf75a155, v79
	s_delay_alu instid0(VALU_DEP_1) | instskip(SKIP_2) | instid1(VALU_DEP_2)
	v_add_f32_e32 v66, v66, v69
	v_sub_f32_e32 v69, v13, v17
	v_add_f32_e32 v13, v17, v13
	v_dual_mul_f32 v17, 0xbe903f40, v12 :: v_dual_mul_f32 v40, 0xbe903f40, v69
	s_delay_alu instid0(VALU_DEP_1) | instskip(NEXT) | instid1(VALU_DEP_2)
	v_fmamk_f32 v36, v13, 0xbf75a155, v17
	v_fma_f32 v20, 0xbf75a155, v76, -v40
	v_fmac_f32_e32 v40, 0xbf75a155, v76
	s_delay_alu instid0(VALU_DEP_2) | instskip(SKIP_4) | instid1(VALU_DEP_4)
	v_add_f32_e32 v16, v20, v37
	v_mul_f32_e32 v20, 0x3f0a6770, v69
	v_fma_f32 v37, 0xbf75a155, v13, -v17
	v_add_f32_e32 v17, v36, v45
	v_add_f32_e32 v36, v40, v24
	v_fma_f32 v49, 0x3f575c64, v76, -v20
	s_delay_alu instid0(VALU_DEP_4) | instskip(SKIP_2) | instid1(VALU_DEP_4)
	v_add_f32_e32 v37, v37, v25
	v_mul_f32_e32 v25, 0xbf4178ce, v69
	v_fmac_f32_e32 v20, 0x3f575c64, v76
	v_dual_add_f32 v40, v49, v53 :: v_dual_mul_f32 v49, 0xbf4178ce, v12
	s_delay_alu instid0(VALU_DEP_1) | instskip(NEXT) | instid1(VALU_DEP_1)
	v_fmamk_f32 v53, v13, 0xbf27a4f4, v49
	v_dual_add_f32 v53, v53, v68 :: v_dual_fmac_f32 v52, 0x3ed4b147, v79
	v_mul_f32_e32 v68, 0x3f68dda4, v12
	s_delay_alu instid0(VALU_DEP_2) | instskip(SKIP_2) | instid1(VALU_DEP_2)
	v_add_f32_e32 v21, v52, v44
	v_mul_f32_e32 v44, 0x3f0a6770, v12
	v_mul_f32_e32 v12, 0xbf7d64f0, v12
	v_fmamk_f32 v24, v13, 0x3f575c64, v44
	s_delay_alu instid0(VALU_DEP_1) | instskip(SKIP_4) | instid1(VALU_DEP_4)
	v_add_f32_e32 v41, v24, v41
	v_fma_f32 v24, 0x3f575c64, v13, -v44
	v_add_f32_e32 v44, v20, v67
	v_fma_f32 v20, 0xbf27a4f4, v13, -v49
	v_mul_f32_e32 v67, 0x3f68dda4, v69
	v_dual_add_f32 v45, v24, v48 :: v_dual_add_f32 v24, v46, v58
	s_delay_alu instid0(VALU_DEP_3) | instskip(SKIP_2) | instid1(VALU_DEP_4)
	v_add_f32_e32 v49, v20, v61
	v_fmamk_f32 v61, v13, 0x3ed4b147, v68
	v_fma_f32 v52, 0xbf27a4f4, v76, -v25
	v_dual_fmac_f32 v25, 0xbf27a4f4, v76 :: v_dual_add_f32 v20, v24, v50
	s_delay_alu instid0(VALU_DEP_3) | instskip(SKIP_1) | instid1(VALU_DEP_3)
	v_dual_sub_f32 v50, v50, v54 :: v_dual_add_f32 v61, v61, v72
	v_sub_f32_e32 v72, v58, v62
	v_dual_add_f32 v48, v25, v70 :: v_dual_add_f32 v25, v47, v59
	v_add_f32_e32 v52, v52, v60
	v_mul_f32_e32 v70, 0xbf7d64f0, v69
	s_delay_alu instid0(VALU_DEP_4)
	v_mul_f32_e32 v82, 0xbf4178ce, v72
	v_add_f32_e32 v20, v20, v38
	v_add_f32_e32 v24, v25, v51
	v_fma_f32 v25, 0x3ed4b147, v76, -v67
	v_fmac_f32_e32 v67, 0x3ed4b147, v76
	v_add_f32_e32 v51, v55, v51
	v_fmamk_f32 v69, v13, 0xbe11bafb, v12
	v_fma_f32 v12, 0xbe11bafb, v13, -v12
	v_add_f32_e32 v60, v25, v71
	v_fma_f32 v25, 0x3ed4b147, v13, -v68
	v_add_f32_e32 v66, v67, v66
	s_delay_alu instid0(VALU_DEP_4) | instskip(NEXT) | instid1(VALU_DEP_3)
	v_dual_mul_f32 v78, 0xbf7d64f0, v72 :: v_dual_add_f32 v71, v12, v77
	v_add_f32_e32 v67, v25, v75
	v_fma_f32 v25, 0xbe11bafb, v76, -v70
	v_add_f32_e32 v69, v69, v74
	s_delay_alu instid0(VALU_DEP_2) | instskip(SKIP_1) | instid1(VALU_DEP_1)
	v_dual_mul_f32 v75, 0xbf0a6770, v72 :: v_dual_add_f32 v68, v25, v73
	v_add_f32_e32 v73, v63, v59
	v_fmamk_f32 v83, v73, 0xbf27a4f4, v82
	v_fmamk_f32 v80, v73, 0xbe11bafb, v78
	v_fma_f32 v78, 0xbe11bafb, v73, -v78
	v_fma_f32 v82, 0xbf27a4f4, v73, -v82
	s_delay_alu instid0(VALU_DEP_4) | instskip(NEXT) | instid1(VALU_DEP_3)
	v_dual_add_f32 v83, v47, v83 :: v_dual_fmac_f32 v70, 0xbe11bafb, v76
	v_add_f32_e32 v78, v47, v78
	s_delay_alu instid0(VALU_DEP_3) | instskip(SKIP_1) | instid1(VALU_DEP_4)
	v_add_f32_e32 v82, v47, v82
	v_add_f32_e32 v80, v47, v80
	v_dual_add_f32 v70, v70, v21 :: v_dual_sub_f32 v21, v59, v63
	s_delay_alu instid0(VALU_DEP_1) | instskip(SKIP_1) | instid1(VALU_DEP_2)
	v_dual_add_f32 v20, v20, v22 :: v_dual_mul_f32 v79, 0xbf4178ce, v21
	v_add_f32_e32 v24, v24, v39
	v_dual_add_f32 v20, v20, v14 :: v_dual_mul_f32 v25, 0xbf0a6770, v21
	v_mul_f32_e32 v76, 0xbf7d64f0, v21
	s_delay_alu instid0(VALU_DEP_3) | instskip(NEXT) | instid1(VALU_DEP_3)
	v_add_f32_e32 v24, v24, v23
	v_add_f32_e32 v20, v20, v18
	s_delay_alu instid0(VALU_DEP_2) | instskip(NEXT) | instid1(VALU_DEP_2)
	v_add_f32_e32 v24, v24, v15
	v_add_f32_e32 v20, v20, v26
	s_delay_alu instid0(VALU_DEP_2) | instskip(NEXT) | instid1(VALU_DEP_2)
	v_add_f32_e32 v24, v24, v19
	v_add_f32_e32 v13, v20, v42
	s_delay_alu instid0(VALU_DEP_1) | instskip(SKIP_1) | instid1(VALU_DEP_2)
	v_dual_add_f32 v24, v24, v27 :: v_dual_add_f32 v13, v13, v54
	v_mul_f32_e32 v54, 0xbf68dda4, v86
	v_add_f32_e32 v20, v24, v43
	v_add_f32_e32 v24, v62, v58
	s_delay_alu instid0(VALU_DEP_1) | instskip(SKIP_4) | instid1(VALU_DEP_4)
	v_fma_f32 v74, 0x3f575c64, v24, -v25
	v_fmac_f32_e32 v25, 0x3f575c64, v24
	v_fma_f32 v77, 0xbe11bafb, v24, -v76
	v_fma_f32 v81, 0xbf27a4f4, v24, -v79
	v_fmac_f32_e32 v79, 0xbf27a4f4, v24
	v_dual_add_f32 v25, v46, v25 :: v_dual_add_f32 v20, v20, v55
	s_delay_alu instid0(VALU_DEP_4) | instskip(SKIP_2) | instid1(VALU_DEP_4)
	v_dual_add_f32 v77, v46, v77 :: v_dual_add_f32 v58, v13, v62
	v_fmamk_f32 v13, v73, 0x3f575c64, v75
	v_fma_f32 v62, 0x3f575c64, v73, -v75
	v_add_f32_e32 v59, v20, v63
	v_mul_f32_e32 v63, 0xbf68dda4, v72
	v_mul_f32_e32 v72, 0xbe903f40, v72
	;; [unrolled: 1-line block ×4, first 2 shown]
	v_add_f32_e32 v81, v46, v81
	s_delay_alu instid0(VALU_DEP_4) | instskip(NEXT) | instid1(VALU_DEP_4)
	v_dual_add_f32 v12, v46, v74 :: v_dual_fmamk_f32 v85, v73, 0xbf75a155, v72
	v_fma_f32 v74, 0x3ed4b147, v24, -v20
	v_dual_fmamk_f32 v75, v73, 0x3ed4b147, v63 :: v_dual_fmac_f32 v20, 0x3ed4b147, v24
	v_fma_f32 v63, 0x3ed4b147, v73, -v63
	v_fma_f32 v84, 0xbf75a155, v24, -v21
	v_dual_add_f32 v85, v47, v85 :: v_dual_fmac_f32 v76, 0xbe11bafb, v24
	v_fmac_f32_e32 v21, 0xbf75a155, v24
	v_fma_f32 v24, 0xbf75a155, v73, -v72
	v_mul_f32_e32 v55, 0xbf68dda4, v50
	v_dual_add_f32 v13, v47, v13 :: v_dual_add_f32 v74, v46, v74
	v_dual_add_f32 v75, v47, v75 :: v_dual_add_f32 v20, v46, v20
	v_mul_f32_e32 v73, 0x3e903f40, v50
	v_dual_add_f32 v63, v47, v63 :: v_dual_add_f32 v76, v46, v76
	v_add_f32_e32 v79, v46, v79
	v_add_f32_e32 v84, v46, v84
	;; [unrolled: 1-line block ×3, first 2 shown]
	v_fma_f32 v72, 0x3ed4b147, v87, -v54
	v_dual_add_f32 v21, v46, v21 :: v_dual_add_f32 v24, v47, v24
	v_mul_f32_e32 v46, 0xbf4178ce, v86
	s_delay_alu instid0(VALU_DEP_3) | instskip(SKIP_2) | instid1(VALU_DEP_4)
	v_dual_fmamk_f32 v47, v51, 0x3ed4b147, v55 :: v_dual_add_f32 v12, v72, v12
	v_fmac_f32_e32 v54, 0x3ed4b147, v87
	v_fma_f32 v55, 0x3ed4b147, v51, -v55
	v_fma_f32 v72, 0xbf27a4f4, v87, -v46
	s_delay_alu instid0(VALU_DEP_4) | instskip(SKIP_1) | instid1(VALU_DEP_4)
	v_add_f32_e32 v13, v47, v13
	v_mul_f32_e32 v47, 0xbf4178ce, v50
	v_dual_add_f32 v25, v54, v25 :: v_dual_add_f32 v54, v55, v62
	s_delay_alu instid0(VALU_DEP_4) | instskip(SKIP_1) | instid1(VALU_DEP_4)
	v_add_f32_e32 v55, v72, v74
	v_mul_f32_e32 v62, 0x3e903f40, v86
	v_fmamk_f32 v72, v51, 0xbf27a4f4, v47
	v_fmac_f32_e32 v46, 0xbf27a4f4, v87
	v_fma_f32 v47, 0xbf27a4f4, v51, -v47
	s_delay_alu instid0(VALU_DEP_4) | instskip(NEXT) | instid1(VALU_DEP_4)
	v_fma_f32 v74, 0xbf75a155, v87, -v62
	v_add_f32_e32 v72, v72, v75
	s_delay_alu instid0(VALU_DEP_4) | instskip(NEXT) | instid1(VALU_DEP_4)
	v_add_f32_e32 v20, v46, v20
	v_add_f32_e32 v46, v47, v63
	v_dual_fmamk_f32 v47, v51, 0xbf75a155, v73 :: v_dual_fmac_f32 v62, 0xbf75a155, v87
	v_fma_f32 v73, 0xbf75a155, v51, -v73
	v_mul_f32_e32 v75, 0x3f7d64f0, v50
	v_dual_add_f32 v63, v74, v77 :: v_dual_mul_f32 v74, 0x3f7d64f0, v86
	s_delay_alu instid0(VALU_DEP_3) | instskip(SKIP_1) | instid1(VALU_DEP_4)
	v_dual_add_f32 v62, v62, v76 :: v_dual_add_f32 v73, v73, v78
	v_mul_f32_e32 v76, 0x3f0a6770, v86
	v_fmamk_f32 v78, v51, 0xbe11bafb, v75
	v_fma_f32 v75, 0xbe11bafb, v51, -v75
	v_add_f32_e32 v47, v47, v80
	v_fma_f32 v77, 0xbe11bafb, v87, -v74
	v_fmac_f32_e32 v74, 0xbe11bafb, v87
	v_fma_f32 v80, 0x3f575c64, v87, -v76
	v_add_f32_e32 v75, v75, v82
	v_sub_f32_e32 v82, v38, v42
	v_add_f32_e32 v78, v78, v83
	v_mul_f32_e32 v50, 0x3f0a6770, v50
	v_dual_add_f32 v74, v74, v79 :: v_dual_add_f32 v77, v77, v81
	s_delay_alu instid0(VALU_DEP_4) | instskip(SKIP_1) | instid1(VALU_DEP_4)
	v_mul_f32_e32 v83, 0x3f68dda4, v82
	v_dual_add_f32 v79, v80, v84 :: v_dual_sub_f32 v80, v39, v43
	v_fmamk_f32 v81, v51, 0x3f575c64, v50
	v_fmac_f32_e32 v76, 0x3f575c64, v87
	v_add_f32_e32 v38, v42, v38
	v_fma_f32 v50, 0x3f575c64, v51, -v50
	v_dual_mul_f32 v42, 0xbf7d64f0, v80 :: v_dual_add_f32 v39, v43, v39
	v_mul_f32_e32 v43, 0xbf7d64f0, v82
	v_add_f32_e32 v51, v81, v85
	v_add_f32_e32 v21, v76, v21
	s_delay_alu instid0(VALU_DEP_4)
	v_fma_f32 v81, 0xbe11bafb, v38, -v42
	v_add_f32_e32 v24, v50, v24
	v_fmamk_f32 v50, v39, 0xbe11bafb, v43
	v_mul_f32_e32 v76, 0x3e903f40, v80
	v_fmac_f32_e32 v42, 0xbe11bafb, v38
	v_fma_f32 v43, 0xbe11bafb, v39, -v43
	s_delay_alu instid0(VALU_DEP_4) | instskip(NEXT) | instid1(VALU_DEP_4)
	v_dual_add_f32 v12, v81, v12 :: v_dual_add_f32 v13, v50, v13
	v_fma_f32 v50, 0xbf75a155, v38, -v76
	v_mul_f32_e32 v81, 0x3e903f40, v82
	s_delay_alu instid0(VALU_DEP_4) | instskip(NEXT) | instid1(VALU_DEP_3)
	v_dual_add_f32 v25, v42, v25 :: v_dual_add_f32 v42, v43, v54
	v_dual_mul_f32 v43, 0x3f68dda4, v80 :: v_dual_add_f32 v50, v50, v55
	s_delay_alu instid0(VALU_DEP_3) | instskip(SKIP_2) | instid1(VALU_DEP_4)
	v_fmamk_f32 v54, v39, 0xbf75a155, v81
	v_fmac_f32_e32 v76, 0xbf75a155, v38
	v_fma_f32 v55, 0xbf75a155, v39, -v81
	v_fma_f32 v81, 0x3ed4b147, v38, -v43
	v_fmac_f32_e32 v43, 0x3ed4b147, v38
	v_sub_f32_e32 v85, v32, v10
	v_add_f32_e32 v20, v76, v20
	s_delay_alu instid0(VALU_DEP_4)
	v_dual_add_f32 v46, v55, v46 :: v_dual_add_f32 v55, v81, v63
	v_fma_f32 v76, 0x3ed4b147, v39, -v83
	v_mul_f32_e32 v81, 0xbf0a6770, v82
	v_fmamk_f32 v63, v39, 0x3ed4b147, v83
	v_add_f32_e32 v43, v43, v62
	v_add_f32_e32 v83, v11, v33
	s_delay_alu instid0(VALU_DEP_4) | instskip(SKIP_2) | instid1(VALU_DEP_3)
	v_dual_add_f32 v62, v76, v73 :: v_dual_fmamk_f32 v73, v39, 0x3f575c64, v81
	v_add_f32_e32 v54, v54, v72
	v_dual_mul_f32 v72, 0xbf0a6770, v80 :: v_dual_add_f32 v47, v63, v47
	v_dual_mul_f32 v76, 0xbf4178ce, v80 :: v_dual_add_f32 v73, v73, v78
	v_mul_f32_e32 v80, 0xbf4178ce, v82
	s_delay_alu instid0(VALU_DEP_3) | instskip(SKIP_1) | instid1(VALU_DEP_4)
	v_fma_f32 v63, 0x3f575c64, v38, -v72
	v_fmac_f32_e32 v72, 0x3f575c64, v38
	v_fma_f32 v78, 0xbf27a4f4, v38, -v76
	v_fmac_f32_e32 v76, 0xbf27a4f4, v38
	v_fma_f32 v38, 0xbf27a4f4, v39, -v80
	v_add_f32_e32 v63, v63, v77
	v_fma_f32 v77, 0x3f575c64, v39, -v81
	v_add_f32_e32 v72, v72, v74
	s_delay_alu instid0(VALU_DEP_4) | instskip(SKIP_1) | instid1(VALU_DEP_4)
	v_dual_add_f32 v21, v76, v21 :: v_dual_add_f32 v24, v38, v24
	v_add_f32_e32 v82, v10, v32
	v_add_f32_e32 v74, v77, v75
	v_add_f32_e32 v77, v78, v79
	v_add_f32_e32 v79, v26, v22
	v_dual_sub_f32 v22, v22, v26 :: v_dual_sub_f32 v75, v23, v27
	v_add_f32_e32 v23, v27, v23
	v_fmamk_f32 v78, v39, 0xbf27a4f4, v80
	s_delay_alu instid0(VALU_DEP_3) | instskip(NEXT) | instid1(VALU_DEP_1)
	v_dual_mul_f32 v27, 0xbf4178ce, v22 :: v_dual_mul_f32 v26, 0xbf4178ce, v75
	v_dual_add_f32 v51, v78, v51 :: v_dual_fmamk_f32 v38, v23, 0xbf27a4f4, v27
	s_delay_alu instid0(VALU_DEP_2) | instskip(SKIP_2) | instid1(VALU_DEP_4)
	v_fma_f32 v39, 0xbf27a4f4, v79, -v26
	v_fmac_f32_e32 v26, 0xbf27a4f4, v79
	v_fma_f32 v27, 0xbf27a4f4, v23, -v27
	v_dual_add_f32 v13, v38, v13 :: v_dual_mul_f32 v38, 0x3f7d64f0, v22
	s_delay_alu instid0(VALU_DEP_4) | instskip(NEXT) | instid1(VALU_DEP_3)
	v_dual_add_f32 v12, v39, v12 :: v_dual_mul_f32 v39, 0x3f7d64f0, v75
	v_dual_add_f32 v25, v26, v25 :: v_dual_add_f32 v26, v27, v42
	s_delay_alu instid0(VALU_DEP_3) | instskip(SKIP_1) | instid1(VALU_DEP_4)
	v_fmamk_f32 v42, v23, 0xbe11bafb, v38
	v_fma_f32 v38, 0xbe11bafb, v23, -v38
	v_fma_f32 v76, 0xbe11bafb, v79, -v39
	v_fmac_f32_e32 v39, 0xbe11bafb, v79
	s_delay_alu instid0(VALU_DEP_4) | instskip(SKIP_2) | instid1(VALU_DEP_4)
	v_dual_mul_f32 v27, 0xbf0a6770, v75 :: v_dual_add_f32 v54, v42, v54
	v_mul_f32_e32 v42, 0xbf0a6770, v22
	v_add_f32_e32 v78, v38, v46
	v_add_f32_e32 v20, v39, v20
	v_mul_f32_e32 v46, 0xbe903f40, v22
	v_mul_f32_e32 v38, 0xbe903f40, v75
	v_fmamk_f32 v39, v23, 0x3f575c64, v42
	v_fma_f32 v42, 0x3f575c64, v23, -v42
	v_mul_f32_e32 v22, 0x3f68dda4, v22
	s_delay_alu instid0(VALU_DEP_3) | instskip(NEXT) | instid1(VALU_DEP_3)
	v_add_f32_e32 v80, v39, v47
	v_dual_fmamk_f32 v39, v23, 0xbf75a155, v46 :: v_dual_add_f32 v62, v42, v62
	v_mul_f32_e32 v42, 0x3f68dda4, v75
	v_sub_f32_e32 v75, v15, v19
	v_dual_add_f32 v15, v19, v15 :: v_dual_add_f32 v50, v76, v50
	v_fma_f32 v76, 0x3f575c64, v79, -v27
	v_fmac_f32_e32 v27, 0x3f575c64, v79
	v_add_f32_e32 v73, v39, v73
	v_fma_f32 v39, 0xbf75a155, v23, -v46
	s_delay_alu instid0(VALU_DEP_4) | instskip(SKIP_4) | instid1(VALU_DEP_4)
	v_add_f32_e32 v55, v76, v55
	v_fma_f32 v76, 0xbf75a155, v79, -v38
	v_add_f32_e32 v27, v27, v43
	v_fma_f32 v43, 0x3ed4b147, v79, -v42
	v_fmac_f32_e32 v38, 0xbf75a155, v79
	v_dual_add_f32 v74, v39, v74 :: v_dual_add_f32 v63, v76, v63
	s_delay_alu instid0(VALU_DEP_3) | instskip(SKIP_1) | instid1(VALU_DEP_4)
	v_dual_mul_f32 v39, 0xbe903f40, v75 :: v_dual_add_f32 v76, v43, v77
	v_add_f32_e32 v77, v18, v14
	v_add_f32_e32 v72, v38, v72
	v_fmamk_f32 v38, v23, 0x3ed4b147, v22
	v_sub_f32_e32 v14, v14, v18
	v_fmac_f32_e32 v42, 0x3ed4b147, v79
	v_fma_f32 v18, 0x3ed4b147, v23, -v22
	v_fma_f32 v22, 0xbf75a155, v77, -v39
	v_fmac_f32_e32 v39, 0xbf75a155, v77
	v_mul_f32_e32 v19, 0xbe903f40, v14
	v_add_f32_e32 v21, v42, v21
	v_add_f32_e32 v18, v18, v24
	;; [unrolled: 1-line block ×3, first 2 shown]
	v_mul_f32_e32 v12, 0x3f0a6770, v75
	v_fmamk_f32 v22, v15, 0xbf75a155, v19
	v_mul_f32_e32 v23, 0x3f0a6770, v14
	v_fma_f32 v19, 0xbf75a155, v15, -v19
	v_add_f32_e32 v81, v38, v51
	v_fma_f32 v24, 0x3f575c64, v77, -v12
	v_fmac_f32_e32 v12, 0x3f575c64, v77
	v_add_f32_e32 v43, v22, v13
	v_fmamk_f32 v13, v15, 0x3f575c64, v23
	v_fma_f32 v22, 0x3f575c64, v15, -v23
	v_add_f32_e32 v38, v39, v25
	v_add_f32_e32 v46, v12, v20
	v_dual_mul_f32 v12, 0x3f68dda4, v75 :: v_dual_add_f32 v39, v19, v26
	v_mul_f32_e32 v19, 0xbf4178ce, v75
	v_add_f32_e32 v51, v13, v54
	v_mul_f32_e32 v13, 0xbf4178ce, v14
	v_add_f32_e32 v47, v22, v78
	v_fma_f32 v22, 0x3ed4b147, v77, -v12
	v_fmac_f32_e32 v12, 0x3ed4b147, v77
	v_fma_f32 v23, 0xbf27a4f4, v77, -v19
	v_fmamk_f32 v20, v15, 0xbf27a4f4, v13
	v_fmac_f32_e32 v19, 0xbf27a4f4, v77
	v_fma_f32 v13, 0xbf27a4f4, v15, -v13
	v_add_f32_e32 v104, v12, v72
	v_sub_f32_e32 v12, v3, v65
	v_add_f32_e32 v100, v23, v55
	s_delay_alu instid0(VALU_DEP_4) | instskip(SKIP_1) | instid1(VALU_DEP_4)
	v_dual_add_f32 v54, v19, v27 :: v_dual_add_f32 v55, v13, v62
	v_mul_f32_e32 v13, 0xbf7d64f0, v75
	v_mul_f32_e32 v23, 0xbf4178ce, v12
	v_dual_add_f32 v101, v20, v80 :: v_dual_mul_f32 v20, 0x3f68dda4, v14
	v_mul_f32_e32 v14, 0xbf7d64f0, v14
	v_add_f32_e32 v102, v22, v63
	v_fma_f32 v22, 0xbe11bafb, v77, -v13
	v_fmac_f32_e32 v13, 0xbe11bafb, v77
	v_fmamk_f32 v19, v15, 0x3ed4b147, v20
	v_fma_f32 v20, 0x3ed4b147, v15, -v20
	v_dual_add_f32 v77, v65, v3 :: v_dual_mul_f32 v62, 0xbf0a6770, v12
	s_delay_alu instid0(VALU_DEP_4) | instskip(NEXT) | instid1(VALU_DEP_4)
	v_add_f32_e32 v108, v13, v21
	v_add_f32_e32 v103, v19, v73
	v_fmamk_f32 v19, v15, 0xbe11bafb, v14
	v_fma_f32 v14, 0xbe11bafb, v15, -v14
	v_dual_mul_f32 v15, 0xbf7d64f0, v12 :: v_dual_add_f32 v50, v24, v50
	s_delay_alu instid0(VALU_DEP_3) | instskip(SKIP_1) | instid1(VALU_DEP_2)
	v_dual_sub_f32 v80, v33, v11 :: v_dual_add_f32 v107, v19, v81
	v_sub_f32_e32 v19, v2, v64
	v_dual_mul_f32 v81, 0xbf4178ce, v85 :: v_dual_mul_f32 v78, 0xbf4178ce, v80
	s_delay_alu instid0(VALU_DEP_2)
	v_mul_f32_e32 v63, 0xbf0a6770, v19
	v_mul_f32_e32 v75, 0xbf68dda4, v19
	;; [unrolled: 1-line block ×4, first 2 shown]
	v_dual_mul_f32 v19, 0xbe903f40, v19 :: v_dual_add_f32 v106, v22, v76
	v_add_f32_e32 v76, v64, v2
	s_delay_alu instid0(VALU_DEP_4)
	v_fmamk_f32 v24, v77, 0xbe11bafb, v21
	v_fma_f32 v21, 0xbe11bafb, v77, -v21
	v_fma_f32 v89, 0xbf27a4f4, v83, -v81
	v_fmamk_f32 v88, v82, 0xbf27a4f4, v78
	v_fma_f32 v22, 0xbe11bafb, v76, -v15
	v_fmac_f32_e32 v15, 0xbe11bafb, v76
	v_dual_add_f32 v105, v20, v74 :: v_dual_fmamk_f32 v74, v77, 0xbf75a155, v19
	v_fma_f32 v19, 0xbf75a155, v77, -v19
	v_fma_f32 v20, 0x3ed4b147, v77, -v75
	v_add_f32_e32 v21, v21, v1
	s_delay_alu instid0(VALU_DEP_4)
	v_dual_fmamk_f32 v13, v76, 0x3f575c64, v62 :: v_dual_add_f32 v84, v74, v1
	v_mul_f32_e32 v74, 0xbf68dda4, v85
	v_add_f32_e32 v19, v19, v1
	v_add_f32_e32 v109, v14, v18
	v_fma_f32 v14, 0x3f575c64, v77, -v63
	v_add_f32_e32 v20, v20, v1
	v_fma_f32 v87, 0x3ed4b147, v83, -v74
	v_dual_add_f32 v13, v13, v0 :: v_dual_add_f32 v24, v24, v1
	s_delay_alu instid0(VALU_DEP_4) | instskip(NEXT) | instid1(VALU_DEP_4)
	v_add_f32_e32 v14, v14, v1
	v_add_f32_e32 v20, v89, v20
	;; [unrolled: 1-line block ×3, first 2 shown]
	v_fma_f32 v25, 0xbf27a4f4, v76, -v23
	v_add_f32_e32 v15, v15, v0
	v_dual_add_f32 v14, v87, v14 :: v_dual_mul_f32 v87, 0x3e903f40, v85
	v_fmamk_f32 v27, v77, 0xbf27a4f4, v26
	s_delay_alu instid0(VALU_DEP_4) | instskip(SKIP_1) | instid1(VALU_DEP_4)
	v_add_f32_e32 v25, v25, v0
	v_fma_f32 v26, 0xbf27a4f4, v77, -v26
	v_fmamk_f32 v89, v83, 0xbf75a155, v87
	v_fma_f32 v87, 0xbf75a155, v83, -v87
	v_add_f32_e32 v27, v27, v1
	s_delay_alu instid0(VALU_DEP_4) | instskip(NEXT) | instid1(VALU_DEP_3)
	v_add_f32_e32 v26, v26, v1
	v_dual_add_f32 v24, v89, v24 :: v_dual_add_f32 v21, v87, v21
	v_mul_f32_e32 v72, 0xbf68dda4, v12
	v_mul_f32_e32 v12, 0xbe903f40, v12
	;; [unrolled: 1-line block ×4, first 2 shown]
	s_delay_alu instid0(VALU_DEP_4) | instskip(NEXT) | instid1(VALU_DEP_4)
	v_fmamk_f32 v18, v76, 0x3ed4b147, v72
	v_fma_f32 v73, 0xbf75a155, v76, -v12
	s_delay_alu instid0(VALU_DEP_4) | instskip(NEXT) | instid1(VALU_DEP_3)
	v_fma_f32 v87, 0xbe11bafb, v83, -v89
	v_add_f32_e32 v18, v18, v0
	s_delay_alu instid0(VALU_DEP_3) | instskip(NEXT) | instid1(VALU_DEP_3)
	v_add_f32_e32 v79, v73, v0
	v_dual_mul_f32 v73, 0xbf68dda4, v80 :: v_dual_add_f32 v26, v87, v26
	s_delay_alu instid0(VALU_DEP_3) | instskip(SKIP_1) | instid1(VALU_DEP_3)
	v_add_f32_e32 v18, v88, v18
	v_mul_f32_e32 v88, 0x3f7d64f0, v80
	v_fmamk_f32 v86, v82, 0x3ed4b147, v73
	s_delay_alu instid0(VALU_DEP_1) | instskip(SKIP_1) | instid1(VALU_DEP_2)
	v_dual_add_f32 v13, v86, v13 :: v_dual_mul_f32 v86, 0x3e903f40, v80
	v_mul_f32_e32 v80, 0x3f0a6770, v80
	v_fma_f32 v90, 0xbf75a155, v82, -v86
	v_fmac_f32_e32 v86, 0xbf75a155, v82
	s_delay_alu instid0(VALU_DEP_2) | instskip(SKIP_1) | instid1(VALU_DEP_3)
	v_add_f32_e32 v22, v90, v22
	v_fma_f32 v90, 0xbe11bafb, v82, -v88
	v_dual_add_f32 v15, v86, v15 :: v_dual_fmamk_f32 v86, v83, 0xbe11bafb, v89
	v_fma_f32 v89, 0x3f575c64, v82, -v80
	s_delay_alu instid0(VALU_DEP_3) | instskip(NEXT) | instid1(VALU_DEP_3)
	v_dual_fmac_f32 v88, 0xbe11bafb, v82 :: v_dual_add_f32 v25, v90, v25
	v_dual_sub_f32 v90, v35, v9 :: v_dual_add_f32 v27, v86, v27
	s_delay_alu instid0(VALU_DEP_3) | instskip(SKIP_1) | instid1(VALU_DEP_3)
	v_dual_fmamk_f32 v86, v83, 0x3f575c64, v85 :: v_dual_add_f32 v87, v89, v79
	v_add_f32_e32 v89, v8, v34
	v_mul_f32_e32 v79, 0xbf7d64f0, v90
	s_delay_alu instid0(VALU_DEP_3) | instskip(SKIP_2) | instid1(VALU_DEP_4)
	v_add_f32_e32 v91, v86, v84
	v_fma_f32 v84, 0x3f575c64, v83, -v85
	v_mul_f32_e32 v86, 0x3e903f40, v92
	v_fmamk_f32 v85, v89, 0xbe11bafb, v79
	s_delay_alu instid0(VALU_DEP_3) | instskip(NEXT) | instid1(VALU_DEP_2)
	v_dual_add_f32 v19, v84, v19 :: v_dual_mul_f32 v84, 0x3e903f40, v90
	v_add_f32_e32 v13, v85, v13
	v_fmac_f32_e32 v23, 0xbf27a4f4, v76
	v_mul_f32_e32 v85, 0x3f68dda4, v90
	s_delay_alu instid0(VALU_DEP_2) | instskip(NEXT) | instid1(VALU_DEP_2)
	v_dual_fmamk_f32 v94, v89, 0xbf75a155, v84 :: v_dual_add_f32 v23, v23, v0
	v_fma_f32 v96, 0x3ed4b147, v89, -v85
	s_delay_alu instid0(VALU_DEP_2) | instskip(NEXT) | instid1(VALU_DEP_3)
	v_dual_fmac_f32 v85, 0x3ed4b147, v89 :: v_dual_add_f32 v18, v94, v18
	v_dual_mul_f32 v94, 0xbf0a6770, v90 :: v_dual_add_f32 v23, v88, v23
	v_add_f32_e32 v88, v9, v35
	s_delay_alu instid0(VALU_DEP_3) | instskip(NEXT) | instid1(VALU_DEP_3)
	v_dual_add_f32 v22, v96, v22 :: v_dual_add_f32 v15, v85, v15
	v_fma_f32 v96, 0x3f575c64, v89, -v94
	v_fmac_f32_e32 v94, 0x3f575c64, v89
	s_delay_alu instid0(VALU_DEP_4) | instskip(NEXT) | instid1(VALU_DEP_3)
	v_fma_f32 v95, 0xbf75a155, v88, -v86
	v_dual_mul_f32 v90, 0xbf4178ce, v90 :: v_dual_add_f32 v25, v96, v25
	s_delay_alu instid0(VALU_DEP_3) | instskip(SKIP_3) | instid1(VALU_DEP_3)
	v_dual_add_f32 v23, v94, v23 :: v_dual_add_f32 v96, v7, v29
	v_mul_f32_e32 v94, 0x3f7d64f0, v98
	v_fmac_f32_e32 v12, 0xbf75a155, v76
	v_add_f32_e32 v20, v95, v20
	v_fma_f32 v111, 0xbe11bafb, v96, -v94
	s_delay_alu instid0(VALU_DEP_3) | instskip(NEXT) | instid1(VALU_DEP_2)
	v_add_f32_e32 v12, v12, v0
	v_add_f32_e32 v20, v111, v20
	v_fmac_f32_e32 v80, 0x3f575c64, v82
	s_delay_alu instid0(VALU_DEP_1) | instskip(SKIP_1) | instid1(VALU_DEP_1)
	v_dual_mul_f32 v111, 0xbe903f40, v97 :: v_dual_add_f32 v12, v80, v12
	v_mul_f32_e32 v80, 0xbf7d64f0, v92
	v_fma_f32 v93, 0xbe11bafb, v88, -v80
	s_delay_alu instid0(VALU_DEP_1) | instskip(NEXT) | instid1(VALU_DEP_1)
	v_dual_add_f32 v14, v93, v14 :: v_dual_mul_f32 v93, 0x3f68dda4, v92
	v_fmamk_f32 v95, v88, 0x3ed4b147, v93
	v_fma_f32 v93, 0x3ed4b147, v88, -v93
	s_delay_alu instid0(VALU_DEP_2) | instskip(SKIP_1) | instid1(VALU_DEP_3)
	v_add_f32_e32 v24, v95, v24
	v_mul_f32_e32 v95, 0xbf0a6770, v92
	v_dual_mul_f32 v92, 0xbf4178ce, v92 :: v_dual_add_f32 v21, v93, v21
	s_delay_alu instid0(VALU_DEP_2) | instskip(SKIP_2) | instid1(VALU_DEP_3)
	v_fmamk_f32 v85, v88, 0x3f575c64, v95
	v_fma_f32 v93, 0x3f575c64, v88, -v95
	v_fma_f32 v95, 0xbf27a4f4, v89, -v90
	v_dual_fmac_f32 v90, 0xbf27a4f4, v89 :: v_dual_add_f32 v27, v85, v27
	s_delay_alu instid0(VALU_DEP_3) | instskip(NEXT) | instid1(VALU_DEP_3)
	v_dual_fmamk_f32 v85, v88, 0xbf27a4f4, v92 :: v_dual_add_f32 v26, v93, v26
	v_add_f32_e32 v93, v95, v87
	v_add_f32_e32 v95, v6, v28
	v_fma_f32 v92, 0xbf27a4f4, v88, -v92
	s_delay_alu instid0(VALU_DEP_4) | instskip(SKIP_2) | instid1(VALU_DEP_4)
	v_add_f32_e32 v91, v85, v91
	v_mul_f32_e32 v85, 0xbf4178ce, v97
	v_dual_mul_f32 v87, 0xbf4178ce, v98 :: v_dual_add_f32 v12, v90, v12
	v_dual_mul_f32 v90, 0x3f7d64f0, v97 :: v_dual_add_f32 v19, v92, v19
	s_delay_alu instid0(VALU_DEP_3) | instskip(NEXT) | instid1(VALU_DEP_3)
	v_fmamk_f32 v99, v95, 0xbf27a4f4, v85
	v_fma_f32 v92, 0xbf27a4f4, v96, -v87
	s_delay_alu instid0(VALU_DEP_2) | instskip(NEXT) | instid1(VALU_DEP_2)
	v_add_f32_e32 v13, v99, v13
	v_dual_fmamk_f32 v99, v95, 0xbe11bafb, v90 :: v_dual_add_f32 v14, v92, v14
	v_mul_f32_e32 v92, 0xbf0a6770, v98
	s_delay_alu instid0(VALU_DEP_2) | instskip(SKIP_1) | instid1(VALU_DEP_3)
	v_add_f32_e32 v18, v99, v18
	v_fma_f32 v99, 0x3f575c64, v95, -v110
	v_fmamk_f32 v112, v96, 0x3f575c64, v92
	v_fmac_f32_e32 v110, 0x3f575c64, v95
	v_fma_f32 v92, 0x3f575c64, v96, -v92
	s_delay_alu instid0(VALU_DEP_4) | instskip(SKIP_1) | instid1(VALU_DEP_4)
	v_add_f32_e32 v22, v99, v22
	v_fma_f32 v99, 0xbf75a155, v95, -v111
	v_dual_add_f32 v110, v110, v15 :: v_dual_mul_f32 v15, 0xbe903f40, v98
	s_delay_alu instid0(VALU_DEP_4) | instskip(SKIP_2) | instid1(VALU_DEP_4)
	v_add_f32_e32 v21, v92, v21
	v_dual_mul_f32 v92, 0x3f68dda4, v97 :: v_dual_mul_f32 v97, 0x3f68dda4, v98
	v_add_f32_e32 v24, v112, v24
	v_dual_fmamk_f32 v98, v96, 0xbf75a155, v15 :: v_dual_add_f32 v25, v99, v25
	v_fmac_f32_e32 v111, 0xbf75a155, v95
	s_delay_alu instid0(VALU_DEP_4)
	v_fmamk_f32 v112, v96, 0x3ed4b147, v97
	v_fma_f32 v15, 0xbf75a155, v96, -v15
	v_fma_f32 v99, 0x3ed4b147, v95, -v92
	v_add_f32_e32 v27, v98, v27
	v_fmac_f32_e32 v92, 0x3ed4b147, v95
	v_add_f32_e32 v112, v112, v91
	v_dual_add_f32 v98, v4, v30 :: v_dual_mul_f32 v91, 0xbe903f40, v113
	v_add_f32_e32 v23, v111, v23
	v_add_f32_e32 v26, v15, v26
	;; [unrolled: 1-line block ×3, first 2 shown]
	v_fma_f32 v15, 0x3ed4b147, v96, -v97
	v_add_f32_e32 v117, v92, v12
	v_dual_add_f32 v99, v5, v31 :: v_dual_mul_f32 v92, 0xbe903f40, v116
	v_fmamk_f32 v12, v98, 0xbf75a155, v91
	v_mul_f32_e32 v93, 0x3f0a6770, v113
	v_dual_mul_f32 v97, 0x3f0a6770, v116 :: v_dual_add_f32 v118, v15, v19
	s_delay_alu instid0(VALU_DEP_4) | instskip(NEXT) | instid1(VALU_DEP_3)
	v_fma_f32 v15, 0xbf75a155, v99, -v92
	v_dual_add_f32 v225, v12, v13 :: v_dual_fmamk_f32 v12, v98, 0x3f575c64, v93
	s_delay_alu instid0(VALU_DEP_3) | instskip(SKIP_1) | instid1(VALU_DEP_4)
	v_fma_f32 v13, 0x3f575c64, v99, -v97
	v_fma_f32 v19, 0xbf27a4f4, v98, -v119
	v_add_f32_e32 v226, v15, v14
	v_fmac_f32_e32 v119, 0xbf27a4f4, v98
	s_delay_alu instid0(VALU_DEP_4) | instskip(NEXT) | instid1(VALU_DEP_4)
	v_dual_add_f32 v14, v12, v18 :: v_dual_add_f32 v15, v13, v20
	v_add_f32_e32 v18, v19, v22
	v_mul_f32_e32 v20, 0x3f68dda4, v113
	v_fma_f32 v13, 0xbf27a4f4, v99, -v120
	v_mul_f32_e32 v22, 0x3f68dda4, v116
	v_fmamk_f32 v12, v99, 0xbf27a4f4, v120
	v_mul_f32_e32 v113, 0xbf7d64f0, v113
	v_fma_f32 v120, 0x3ed4b147, v98, -v20
	v_add_f32_e32 v13, v13, v21
	v_fmamk_f32 v21, v99, 0x3ed4b147, v22
	v_dual_fmac_f32 v20, 0x3ed4b147, v98 :: v_dual_add_f32 v19, v12, v24
	v_add_f32_e32 v12, v119, v110
	v_add_f32_e32 v24, v120, v25
	v_fma_f32 v110, 0x3ed4b147, v99, -v22
	v_add_f32_e32 v25, v21, v27
	v_dual_mul_f32 v21, 0xbf7d64f0, v116 :: v_dual_add_f32 v22, v20, v23
	v_fma_f32 v20, 0xbe11bafb, v98, -v113
	v_mul_lo_u16 v27, v131, 11
	s_delay_alu instid0(VALU_DEP_3) | instskip(NEXT) | instid1(VALU_DEP_3)
	v_dual_add_f32 v23, v110, v26 :: v_dual_fmamk_f32 v110, v99, 0xbe11bafb, v21
	v_dual_fmac_f32 v113, 0xbe11bafb, v98 :: v_dual_add_f32 v26, v20, v111
	s_delay_alu instid0(VALU_DEP_3) | instskip(SKIP_1) | instid1(VALU_DEP_4)
	v_and_b32_e32 v111, 0xffff, v27
	v_fma_f32 v21, 0xbe11bafb, v99, -v21
	v_add_f32_e32 v27, v110, v112
	v_mul_u32_u24_e32 v110, 11, v115
	v_add_f32_e32 v20, v113, v117
	s_delay_alu instid0(VALU_DEP_4)
	v_dual_add_f32 v21, v21, v118 :: v_dual_lshlrev_b32 v234, 3, v111
	ds_store_2addr_b64 v234, v[56:57], v[16:17] offset1:1
	ds_store_2addr_b64 v234, v[40:41], v[52:53] offset0:2 offset1:3
	v_lshlrev_b32_e32 v235, 3, v110
	v_mul_u32_u24_e32 v16, 11, v114
	ds_store_2addr_b64 v234, v[60:61], v[68:69] offset0:4 offset1:5
	ds_store_2addr_b64 v234, v[70:71], v[66:67] offset0:6 offset1:7
	;; [unrolled: 1-line block ×3, first 2 shown]
	ds_store_b64 v234, v[36:37] offset:80
	ds_store_2addr_b64 v235, v[58:59], v[42:43] offset1:1
	ds_store_2addr_b64 v235, v[50:51], v[100:101] offset0:2 offset1:3
	scratch_store_b32 off, v16, off offset:184 ; 4-byte Folded Spill
	ds_store_2addr_b64 v235, v[102:103], v[106:107] offset0:4 offset1:5
	ds_store_2addr_b64 v235, v[108:109], v[104:105] offset0:6 offset1:7
	ds_store_2addr_b64 v235, v[54:55], v[46:47] offset0:8 offset1:9
	ds_store_b64 v235, v[38:39] offset:80
	s_and_saveexec_b32 s2, vcc_lo
	s_cbranch_execz .LBB0_7
; %bb.6:
	v_dual_mul_f32 v36, 0x3ed4b147, v76 :: v_dual_mul_f32 v37, 0x3ed4b147, v77
	v_dual_mul_f32 v40, 0xbf27a4f4, v82 :: v_dual_mul_f32 v41, 0xbf27a4f4, v83
	;; [unrolled: 1-line block ×3, first 2 shown]
	s_delay_alu instid0(VALU_DEP_3) | instskip(NEXT) | instid1(VALU_DEP_3)
	v_dual_add_f32 v37, v75, v37 :: v_dual_mul_f32 v46, 0xbf27a4f4, v95
	v_dual_mul_f32 v48, 0xbe11bafb, v95 :: v_dual_add_f32 v41, v81, v41
	s_delay_alu instid0(VALU_DEP_2) | instskip(SKIP_3) | instid1(VALU_DEP_4)
	v_dual_sub_f32 v36, v36, v72 :: v_dual_add_f32 v37, v37, v1
	v_dual_mul_f32 v47, 0xbf27a4f4, v96 :: v_dual_sub_f32 v40, v40, v78
	v_dual_add_f32 v3, v3, v1 :: v_dual_add_f32 v2, v2, v0
	v_mul_f32_e32 v49, 0xbe11bafb, v96
	v_dual_add_f32 v37, v41, v37 :: v_dual_add_f32 v36, v36, v0
	v_dual_add_f32 v41, v86, v45 :: v_dual_mul_f32 v52, 0x3f575c64, v99
	v_dual_mul_f32 v16, 0x3f575c64, v76 :: v_dual_mul_f32 v17, 0x3f575c64, v77
	s_delay_alu instid0(VALU_DEP_3) | instskip(NEXT) | instid1(VALU_DEP_3)
	v_dual_mul_f32 v45, 0x3f575c64, v98 :: v_dual_add_f32 v36, v40, v36
	v_dual_add_f32 v37, v41, v37 :: v_dual_sub_f32 v40, v44, v84
	v_dual_add_f32 v32, v32, v2 :: v_dual_add_f32 v41, v94, v49
	v_dual_mul_f32 v38, 0x3ed4b147, v82 :: v_dual_mul_f32 v39, 0x3ed4b147, v83
	s_delay_alu instid0(VALU_DEP_3) | instskip(NEXT) | instid1(VALU_DEP_3)
	v_dual_add_f32 v36, v40, v36 :: v_dual_add_f32 v17, v63, v17
	v_dual_add_f32 v37, v41, v37 :: v_dual_add_f32 v32, v34, v32
	v_dual_add_f32 v41, v97, v52 :: v_dual_sub_f32 v16, v16, v62
	v_dual_add_f32 v3, v33, v3 :: v_dual_mul_f32 v42, 0xbe11bafb, v89
	v_mul_f32_e32 v43, 0xbe11bafb, v88
	v_dual_mul_f32 v50, 0xbf75a155, v98 :: v_dual_mul_f32 v51, 0xbf75a155, v99
	s_delay_alu instid0(VALU_DEP_3) | instskip(SKIP_4) | instid1(VALU_DEP_4)
	v_dual_add_f32 v0, v16, v0 :: v_dual_add_f32 v3, v35, v3
	v_sub_f32_e32 v16, v38, v73
	v_add_f32_e32 v1, v17, v1
	v_add_f32_e32 v17, v28, v32
	v_dual_sub_f32 v33, v48, v90 :: v_dual_add_f32 v2, v41, v37
	v_add_f32_e32 v0, v16, v0
	s_delay_alu instid0(VALU_DEP_3) | instskip(SKIP_1) | instid1(VALU_DEP_4)
	v_dual_add_f32 v16, v87, v47 :: v_dual_add_f32 v17, v30, v17
	v_add_f32_e32 v3, v29, v3
	v_dual_add_f32 v28, v74, v39 :: v_dual_add_f32 v33, v33, v36
	s_delay_alu instid0(VALU_DEP_2) | instskip(NEXT) | instid1(VALU_DEP_1)
	v_dual_add_f32 v4, v4, v17 :: v_dual_add_f32 v3, v31, v3
	v_dual_add_f32 v4, v6, v4 :: v_dual_add_f32 v3, v5, v3
	v_sub_f32_e32 v5, v42, v79
	v_add_f32_e32 v6, v92, v51
	s_delay_alu instid0(VALU_DEP_3) | instskip(NEXT) | instid1(VALU_DEP_3)
	v_add_f32_e32 v4, v8, v4
	v_dual_add_f32 v0, v5, v0 :: v_dual_sub_f32 v5, v46, v85
	v_add_f32_e32 v1, v28, v1
	v_add_f32_e32 v28, v80, v43
	s_delay_alu instid0(VALU_DEP_4) | instskip(NEXT) | instid1(VALU_DEP_4)
	v_add_f32_e32 v8, v10, v4
	v_dual_add_f32 v0, v5, v0 :: v_dual_sub_f32 v5, v50, v91
	s_delay_alu instid0(VALU_DEP_3) | instskip(NEXT) | instid1(VALU_DEP_1)
	v_add_f32_e32 v1, v28, v1
	v_add_f32_e32 v1, v16, v1
	s_delay_alu instid0(VALU_DEP_1) | instskip(NEXT) | instid1(VALU_DEP_1)
	v_dual_add_f32 v3, v7, v3 :: v_dual_add_f32 v4, v6, v1
	v_add_f32_e32 v3, v9, v3
	v_sub_f32_e32 v9, v45, v93
	s_delay_alu instid0(VALU_DEP_2)
	v_add_f32_e32 v7, v11, v3
	v_add_f32_e32 v3, v5, v0
	v_mul_u32_u24_e32 v0, 11, v114
	v_add_f32_e32 v5, v64, v8
	v_add_f32_e32 v1, v9, v33
	;; [unrolled: 1-line block ×3, first 2 shown]
	s_delay_alu instid0(VALU_DEP_4)
	v_lshlrev_b32_e32 v0, 3, v0
	ds_store_2addr_b64 v0, v[5:6], v[3:4] offset1:1
	ds_store_2addr_b64 v0, v[1:2], v[18:19] offset0:2 offset1:3
	ds_store_2addr_b64 v0, v[24:25], v[26:27] offset0:4 offset1:5
	;; [unrolled: 1-line block ×4, first 2 shown]
	ds_store_b64 v0, v[225:226] offset:80
.LBB0_7:
	s_wait_alu 0xfffe
	s_or_b32 exec_lo, exec_lo, s2
	v_and_b32_e32 v0, 0xff, v131
	v_and_b32_e32 v1, 0xff, v115
	global_wb scope:SCOPE_SE
	s_wait_storecnt_dscnt 0x0
	s_barrier_signal -1
	s_barrier_wait -1
	v_mul_lo_u16 v0, 0x75, v0
	v_mul_lo_u16 v1, 0x75, v1
	global_inv scope:SCOPE_SE
	v_add_nc_u32_e32 v147, 0x1000, v227
	v_add_co_u32 v116, null, 0xa5, v131
	v_lshrrev_b16 v0, 8, v0
	v_lshrrev_b16 v1, 8, v1
	v_add_co_u32 v120, null, 0xdc, v131
	s_delay_alu instid0(VALU_DEP_4) | instskip(NEXT) | instid1(VALU_DEP_4)
	v_and_b32_e32 v65, 0xff, v116
	v_sub_nc_u16 v2, v131, v0
	s_delay_alu instid0(VALU_DEP_4) | instskip(SKIP_2) | instid1(VALU_DEP_4)
	v_sub_nc_u16 v3, v115, v1
	v_and_b32_e32 v64, 0xff, v114
	v_and_b32_e32 v66, 0xffff, v120
	v_lshrrev_b16 v2, 1, v2
	s_delay_alu instid0(VALU_DEP_4) | instskip(NEXT) | instid1(VALU_DEP_2)
	v_lshrrev_b16 v3, 1, v3
	v_and_b32_e32 v2, 0x7f, v2
	s_delay_alu instid0(VALU_DEP_2) | instskip(NEXT) | instid1(VALU_DEP_2)
	v_and_b32_e32 v3, 0x7f, v3
	v_add_nc_u16 v0, v2, v0
	s_delay_alu instid0(VALU_DEP_2) | instskip(NEXT) | instid1(VALU_DEP_2)
	v_add_nc_u16 v1, v3, v1
	v_lshrrev_b16 v33, 3, v0
	s_delay_alu instid0(VALU_DEP_2) | instskip(NEXT) | instid1(VALU_DEP_2)
	v_lshrrev_b16 v16, 3, v1
	v_mul_lo_u16 v0, v33, 11
	s_delay_alu instid0(VALU_DEP_2) | instskip(SKIP_2) | instid1(VALU_DEP_4)
	v_mul_lo_u16 v1, v16, 11
	v_and_b32_e32 v33, 0xffff, v33
	v_and_b32_e32 v16, 0xffff, v16
	v_sub_nc_u16 v0, v131, v0
	s_delay_alu instid0(VALU_DEP_4) | instskip(NEXT) | instid1(VALU_DEP_4)
	v_sub_nc_u16 v1, v115, v1
	v_mul_u32_u24_e32 v33, 55, v33
	s_delay_alu instid0(VALU_DEP_4) | instskip(NEXT) | instid1(VALU_DEP_4)
	v_mul_u32_u24_e32 v16, 55, v16
	v_and_b32_e32 v32, 0xff, v0
	s_delay_alu instid0(VALU_DEP_4) | instskip(NEXT) | instid1(VALU_DEP_2)
	v_and_b32_e32 v17, 0xff, v1
	v_lshlrev_b32_e32 v4, 5, v32
	s_delay_alu instid0(VALU_DEP_2)
	v_lshlrev_b32_e32 v28, 5, v17
	s_clause 0x3
	global_load_b128 v[8:11], v4, s[0:1]
	global_load_b128 v[0:3], v28, s[0:1]
	global_load_b128 v[4:7], v4, s[0:1] offset:16
	global_load_b128 v[28:31], v28, s[0:1] offset:16
	ds_load_2addr_b64 v[34:37], v147 offset0:38 offset1:93
	v_add_nc_u32_e32 v146, 0x2000, v227
	ds_load_2addr_b64 v[71:74], v227 offset1:55
	v_add_nc_u32_e32 v148, 0x1800, v227
	ds_load_b64 v[107:108], v227 offset:10560
	v_add_nc_u32_e32 v149, 0x1c00, v227
	ds_load_2addr_b64 v[38:41], v146 offset0:76 offset1:131
	s_wait_loadcnt_dscnt 0x303
	v_mul_f32_e32 v42, v35, v11
	v_mul_f32_e32 v109, v34, v11
	s_wait_loadcnt_dscnt 0x100
	v_mul_f32_e32 v111, v38, v7
	v_mul_f32_e32 v43, v37, v3
	v_add_lshl_u32 v132, v33, v32, 3
	v_fma_f32 v110, v34, v10, -v42
	v_fmac_f32_e32 v109, v35, v10
	s_wait_loadcnt 0x0
	v_mul_f32_e32 v69, v40, v31
	v_mul_f32_e32 v34, v39, v7
	;; [unrolled: 1-line block ×4, first 2 shown]
	v_fma_f32 v68, v36, v2, -v43
	v_fmac_f32_e32 v69, v41, v30
	v_fma_f32 v112, v38, v6, -v34
	v_mul_lo_u16 v34, 0x75, v64
	v_fma_f32 v70, v40, v30, -v35
	v_dual_fmac_f32 v67, v37, v2 :: v_dual_add_nc_u32 v142, 0x400, v227
	v_fmac_f32_e32 v111, v39, v6
	s_delay_alu instid0(VALU_DEP_4) | instskip(SKIP_1) | instid1(VALU_DEP_2)
	v_lshrrev_b16 v34, 8, v34
	v_mul_lo_u16 v64, 0x95, v64
	v_sub_nc_u16 v35, v114, v34
	s_delay_alu instid0(VALU_DEP_2) | instskip(NEXT) | instid1(VALU_DEP_2)
	v_lshrrev_b16 v64, 13, v64
	v_lshrrev_b16 v35, 1, v35
	s_delay_alu instid0(VALU_DEP_2) | instskip(NEXT) | instid1(VALU_DEP_2)
	v_mul_lo_u16 v64, v64, 55
	v_and_b32_e32 v35, 0x7f, v35
	s_delay_alu instid0(VALU_DEP_2) | instskip(NEXT) | instid1(VALU_DEP_2)
	v_sub_nc_u16 v64, v114, v64
	v_add_nc_u16 v40, v35, v34
	v_mul_lo_u16 v34, 0x75, v65
	s_delay_alu instid0(VALU_DEP_2) | instskip(NEXT) | instid1(VALU_DEP_2)
	v_lshrrev_b16 v123, 3, v40
	v_lshrrev_b16 v34, 8, v34
	s_delay_alu instid0(VALU_DEP_1) | instskip(NEXT) | instid1(VALU_DEP_1)
	v_sub_nc_u16 v35, v116, v34
	v_lshrrev_b16 v35, 1, v35
	s_delay_alu instid0(VALU_DEP_1) | instskip(NEXT) | instid1(VALU_DEP_1)
	v_and_b32_e32 v35, 0x7f, v35
	v_add_nc_u16 v41, v35, v34
	ds_load_2addr_b64 v[32:35], v142 offset0:92 offset1:147
	v_lshrrev_b16 v124, 3, v41
	v_mul_lo_u16 v41, v123, 11
	s_delay_alu instid0(VALU_DEP_1) | instskip(SKIP_3) | instid1(VALU_DEP_2)
	v_sub_nc_u16 v41, v114, v41
	s_wait_dscnt 0x0
	v_mul_f32_e32 v36, v35, v9
	v_mul_f32_e32 v121, v34, v9
	v_fma_f32 v113, v34, v8, -v36
	ds_load_2addr_b64 v[36:39], v148 offset0:2 offset1:57
	v_add_nc_u32_e32 v150, 0x800, v227
	v_sub_f32_e32 v126, v113, v112
	s_wait_dscnt 0x0
	v_mul_f32_e32 v42, v39, v5
	v_mul_f32_e32 v119, v38, v5
	s_delay_alu instid0(VALU_DEP_2) | instskip(NEXT) | instid1(VALU_DEP_2)
	v_fma_f32 v117, v38, v4, -v42
	v_fmac_f32_e32 v119, v39, v4
	v_dual_fmac_f32 v121, v35, v8 :: v_dual_sub_f32 v42, v113, v110
	s_delay_alu instid0(VALU_DEP_2) | instskip(NEXT) | instid1(VALU_DEP_2)
	v_dual_sub_f32 v128, v110, v117 :: v_dual_sub_f32 v35, v111, v119
	v_sub_f32_e32 v34, v121, v109
	v_sub_f32_e32 v43, v112, v117
	v_add_f32_e32 v38, v110, v117
	s_delay_alu instid0(VALU_DEP_3) | instskip(SKIP_1) | instid1(VALU_DEP_4)
	v_add_f32_e32 v122, v34, v35
	v_add_f32_e32 v34, v71, v113
	v_dual_add_f32 v118, v42, v43 :: v_dual_add_f32 v35, v72, v121
	v_mul_lo_u16 v42, v124, 11
	v_fma_f32 v38, -0.5, v38, v71
	s_delay_alu instid0(VALU_DEP_4) | instskip(SKIP_1) | instid1(VALU_DEP_4)
	v_add_f32_e32 v34, v34, v110
	v_mul_lo_u16 v65, 0x95, v65
	v_sub_nc_u16 v42, v116, v42
	s_delay_alu instid0(VALU_DEP_3) | instskip(SKIP_1) | instid1(VALU_DEP_3)
	v_dual_add_f32 v34, v34, v117 :: v_dual_add_f32 v39, v109, v119
	v_and_b32_e32 v129, 0xff, v41
	v_and_b32_e32 v130, 0xff, v42
	v_lshrrev_b16 v65, 13, v65
	s_delay_alu instid0(VALU_DEP_4)
	v_add_f32_e32 v103, v34, v112
	v_fma_f32 v39, -0.5, v39, v72
	v_add_f32_e32 v35, v35, v109
	v_mul_u32_u24_e32 v34, 0xba2f, v66
	v_lshlrev_b32_e32 v41, 5, v129
	v_mul_lo_u16 v65, v65, 55
	s_delay_alu instid0(VALU_DEP_4) | instskip(NEXT) | instid1(VALU_DEP_4)
	v_dual_fmamk_f32 v106, v126, 0xbf737871, v39 :: v_dual_add_f32 v35, v35, v119
	v_lshrrev_b32_e32 v34, 19, v34
	v_lshlrev_b32_e32 v42, 5, v130
	s_delay_alu instid0(VALU_DEP_4) | instskip(NEXT) | instid1(VALU_DEP_4)
	v_sub_nc_u16 v65, v116, v65
	v_fmac_f32_e32 v106, 0xbf167918, v128
	v_add_f32_e32 v104, v35, v111
	v_mul_lo_u16 v35, v34, 11
	s_delay_alu instid0(VALU_DEP_3) | instskip(NEXT) | instid1(VALU_DEP_2)
	v_dual_sub_f32 v127, v109, v119 :: v_dual_fmac_f32 v106, 0x3e9e377a, v122
	v_sub_nc_u16 v35, v120, v35
	s_delay_alu instid0(VALU_DEP_1) | instskip(SKIP_1) | instid1(VALU_DEP_2)
	v_lshlrev_b16 v40, 2, v35
	v_mad_u16 v34, v34, 55, v35
	v_dual_sub_f32 v125, v121, v111 :: v_dual_and_b32 v40, 0xffff, v40
	s_delay_alu instid0(VALU_DEP_1)
	v_dual_fmamk_f32 v105, v125, 0x3f737871, v38 :: v_dual_lshlrev_b32 v40, 3, v40
	s_clause 0x5
	global_load_b128 v[60:63], v41, s[0:1]
	global_load_b128 v[56:59], v41, s[0:1] offset:16
	global_load_b128 v[52:55], v42, s[0:1]
	global_load_b128 v[48:51], v42, s[0:1] offset:16
	;; [unrolled: 2-line block ×3, first 2 shown]
	ds_load_2addr_b64 v[75:78], v227 offset0:110 offset1:165
	ds_load_2addr_b64 v[79:82], v150 offset0:184 offset1:239
	;; [unrolled: 1-line block ×7, first 2 shown]
	global_wb scope:SCOPE_SE
	s_wait_loadcnt_dscnt 0x0
	s_barrier_signal -1
	v_fmac_f32_e32 v105, 0x3f167918, v127
	s_barrier_wait -1
	global_inv scope:SCOPE_SE
	v_fmac_f32_e32 v38, 0xbf737871, v125
	v_fmac_f32_e32 v105, 0x3e9e377a, v118
	ds_store_2addr_b64 v132, v[103:104], v[105:106] offset1:11
	v_sub_f32_e32 v106, v109, v121
	v_add_f32_e32 v109, v121, v111
	v_dual_sub_f32 v103, v110, v113 :: v_dual_sub_f32 v104, v117, v112
	v_sub_f32_e32 v110, v119, v111
	v_lshlrev_b32_e32 v117, 5, v131
	s_delay_alu instid0(VALU_DEP_4) | instskip(SKIP_2) | instid1(VALU_DEP_2)
	v_fma_f32 v72, -0.5, v109, v72
	v_add_f32_e32 v105, v113, v112
	v_add_f32_e32 v104, v103, v104
	v_fma_f32 v71, -0.5, v105, v71
	v_add_f32_e32 v105, v106, v110
	v_add_lshl_u32 v110, v16, v17, 3
	v_mul_f32_e32 v16, v92, v29
	scratch_store_b32 off, v132, off offset:148 ; 4-byte Folded Spill
	v_fmamk_f32 v103, v127, 0xbf737871, v71
	v_fmac_f32_e32 v71, 0x3f737871, v127
	s_delay_alu instid0(VALU_DEP_2) | instskip(NEXT) | instid1(VALU_DEP_2)
	v_fmac_f32_e32 v103, 0x3f167918, v125
	v_fmac_f32_e32 v71, 0xbf167918, v125
	s_delay_alu instid0(VALU_DEP_2) | instskip(NEXT) | instid1(VALU_DEP_2)
	v_fmac_f32_e32 v103, 0x3e9e377a, v104
	v_fmac_f32_e32 v71, 0x3e9e377a, v104
	v_fmamk_f32 v104, v128, 0x3f737871, v72
	v_fmac_f32_e32 v72, 0xbf737871, v128
	s_delay_alu instid0(VALU_DEP_2) | instskip(NEXT) | instid1(VALU_DEP_2)
	v_fmac_f32_e32 v104, 0xbf167918, v126
	v_fmac_f32_e32 v72, 0x3f167918, v126
	s_delay_alu instid0(VALU_DEP_2) | instskip(NEXT) | instid1(VALU_DEP_2)
	v_fmac_f32_e32 v104, 0x3e9e377a, v105
	v_fmac_f32_e32 v72, 0x3e9e377a, v105
	ds_store_2addr_b64 v132, v[103:104], v[71:72] offset0:22 offset1:33
	v_fma_f32 v71, v91, v28, -v16
	v_dual_fmac_f32 v39, 0x3f737871, v126 :: v_dual_mul_f32 v16, v88, v1
	s_delay_alu instid0(VALU_DEP_2) | instskip(NEXT) | instid1(VALU_DEP_2)
	v_dual_mul_f32 v91, v91, v29 :: v_dual_sub_f32 v106, v68, v71
	v_fma_f32 v72, v87, v0, -v16
	v_fmac_f32_e32 v38, 0xbf167918, v127
	s_delay_alu instid0(VALU_DEP_4) | instskip(SKIP_1) | instid1(VALU_DEP_4)
	v_dual_add_f32 v16, v68, v71 :: v_dual_fmac_f32 v39, 0x3f167918, v128
	v_mul_f32_e32 v87, v87, v1
	v_add_f32_e32 v17, v72, v70
	s_delay_alu instid0(VALU_DEP_4) | instskip(NEXT) | instid1(VALU_DEP_4)
	v_dual_fmac_f32 v38, 0x3e9e377a, v118 :: v_dual_add_f32 v103, v73, v72
	v_fma_f32 v16, -0.5, v16, v73
	s_delay_alu instid0(VALU_DEP_4) | instskip(SKIP_3) | instid1(VALU_DEP_4)
	v_fmac_f32_e32 v87, v88, v0
	v_fmac_f32_e32 v39, 0x3e9e377a, v122
	v_fma_f32 v73, -0.5, v17, v73
	v_sub_f32_e32 v17, v68, v72
	v_dual_fmac_f32 v91, v92, v28 :: v_dual_add_f32 v88, v74, v87
	ds_store_b64 v132, v[38:39] offset:352
	v_sub_f32_e32 v38, v71, v70
	v_sub_f32_e32 v109, v72, v70
	s_delay_alu instid0(VALU_DEP_2) | instskip(SKIP_2) | instid1(VALU_DEP_2)
	v_dual_sub_f32 v72, v72, v68 :: v_dual_add_f32 v39, v17, v38
	v_add_f32_e32 v17, v67, v91
	v_add_f32_e32 v38, v87, v69
	v_fma_f32 v17, -0.5, v17, v74
	s_delay_alu instid0(VALU_DEP_2) | instskip(SKIP_4) | instid1(VALU_DEP_3)
	v_fmac_f32_e32 v74, -0.5, v38
	v_sub_f32_e32 v38, v67, v87
	v_sub_f32_e32 v92, v91, v69
	;; [unrolled: 1-line block ×4, first 2 shown]
	v_add_f32_e32 v92, v38, v92
	s_delay_alu instid0(VALU_DEP_2) | instskip(SKIP_1) | instid1(VALU_DEP_2)
	v_fmamk_f32 v38, v104, 0xbf737871, v73
	v_fmac_f32_e32 v73, 0x3f737871, v104
	v_fmac_f32_e32 v38, 0x3f167918, v105
	s_delay_alu instid0(VALU_DEP_2) | instskip(NEXT) | instid1(VALU_DEP_2)
	v_fmac_f32_e32 v73, 0xbf167918, v105
	v_fmac_f32_e32 v38, 0x3e9e377a, v39
	s_delay_alu instid0(VALU_DEP_2) | instskip(SKIP_2) | instid1(VALU_DEP_2)
	v_fmac_f32_e32 v73, 0x3e9e377a, v39
	v_fmamk_f32 v39, v106, 0x3f737871, v74
	v_fmac_f32_e32 v74, 0xbf737871, v106
	v_fmac_f32_e32 v39, 0xbf167918, v109
	s_delay_alu instid0(VALU_DEP_2) | instskip(NEXT) | instid1(VALU_DEP_2)
	v_fmac_f32_e32 v74, 0x3f167918, v109
	v_fmac_f32_e32 v39, 0x3e9e377a, v92
	s_delay_alu instid0(VALU_DEP_2) | instskip(SKIP_3) | instid1(VALU_DEP_2)
	v_fmac_f32_e32 v74, 0x3e9e377a, v92
	ds_store_2addr_b64 v110, v[38:39], v[73:74] offset0:22 offset1:33
	v_add_f32_e32 v39, v88, v67
	v_sub_f32_e32 v67, v87, v67
	v_add_f32_e32 v39, v39, v91
	s_delay_alu instid0(VALU_DEP_1) | instskip(SKIP_1) | instid1(VALU_DEP_1)
	v_add_f32_e32 v39, v39, v69
	v_sub_f32_e32 v69, v69, v91
	v_add_f32_e32 v69, v67, v69
	v_fmamk_f32 v67, v105, 0x3f737871, v16
	s_delay_alu instid0(VALU_DEP_1) | instskip(SKIP_1) | instid1(VALU_DEP_2)
	v_dual_fmac_f32 v67, 0x3f167918, v104 :: v_dual_mul_f32 v38, v90, v61
	v_mul_f32_e32 v74, v89, v61
	v_fma_f32 v73, v89, v60, -v38
	v_mul_f32_e32 v38, v94, v57
	s_delay_alu instid0(VALU_DEP_3) | instskip(SKIP_1) | instid1(VALU_DEP_3)
	v_fmac_f32_e32 v74, v90, v60
	v_mul_f32_e32 v90, v93, v57
	v_fma_f32 v89, v93, v56, -v38
	v_mul_f32_e32 v38, v96, v63
	v_mul_f32_e32 v93, v95, v63
	s_delay_alu instid0(VALU_DEP_2) | instskip(SKIP_2) | instid1(VALU_DEP_4)
	v_fma_f32 v92, v95, v62, -v38
	v_mul_f32_e32 v38, v98, v55
	v_mul_f32_e32 v95, v97, v55
	v_fmac_f32_e32 v93, v96, v62
	s_delay_alu instid0(VALU_DEP_2) | instskip(SKIP_4) | instid1(VALU_DEP_4)
	v_dual_sub_f32 v88, v92, v89 :: v_dual_fmac_f32 v95, v98, v54
	v_fmac_f32_e32 v90, v94, v56
	v_fma_f32 v94, v97, v54, -v38
	v_mul_f32_e32 v97, v99, v59
	v_mul_f32_e32 v38, v100, v59
	v_dual_fmac_f32 v16, 0xbf737871, v105 :: v_dual_sub_f32 v87, v93, v90
	s_delay_alu instid0(VALU_DEP_3) | instskip(NEXT) | instid1(VALU_DEP_3)
	v_fmac_f32_e32 v97, v100, v58
	v_fma_f32 v96, v99, v58, -v38
	v_mul_f32_e32 v38, v102, v51
	s_delay_alu instid0(VALU_DEP_4) | instskip(NEXT) | instid1(VALU_DEP_2)
	v_dual_mul_f32 v99, v101, v51 :: v_dual_fmac_f32 v16, 0xbf167918, v104
	v_fma_f32 v98, v101, v50, -v38
	v_add_f32_e32 v38, v103, v68
	v_sub_f32_e32 v68, v70, v71
	s_delay_alu instid0(VALU_DEP_4) | instskip(NEXT) | instid1(VALU_DEP_3)
	v_fmac_f32_e32 v99, v102, v50
	v_add_f32_e32 v38, v38, v71
	v_sub_f32_e32 v71, v74, v97
	s_delay_alu instid0(VALU_DEP_2) | instskip(SKIP_4) | instid1(VALU_DEP_2)
	v_add_f32_e32 v38, v38, v70
	v_add_f32_e32 v70, v72, v68
	v_sub_f32_e32 v72, v73, v96
	v_fmamk_f32 v68, v109, 0xbf737871, v17
	v_fmac_f32_e32 v17, 0x3f737871, v109
	v_fmac_f32_e32 v68, 0xbf167918, v106
	s_delay_alu instid0(VALU_DEP_2) | instskip(SKIP_1) | instid1(VALU_DEP_3)
	v_fmac_f32_e32 v17, 0x3f167918, v106
	v_fmac_f32_e32 v16, 0x3e9e377a, v70
	v_dual_fmac_f32 v67, 0x3e9e377a, v70 :: v_dual_fmac_f32 v68, 0x3e9e377a, v69
	s_delay_alu instid0(VALU_DEP_3)
	v_fmac_f32_e32 v17, 0x3e9e377a, v69
	ds_store_2addr_b64 v110, v[38:39], v[67:68] offset1:11
	ds_store_b64 v110, v[16:17] offset:352
	v_dual_sub_f32 v39, v97, v90 :: v_dual_and_b32 v16, 0xffff, v123
	v_sub_f32_e32 v17, v96, v89
	v_sub_f32_e32 v38, v74, v93
	s_delay_alu instid0(VALU_DEP_3) | instskip(NEXT) | instid1(VALU_DEP_2)
	v_mul_u32_u24_e32 v16, 55, v16
	v_dual_add_f32 v70, v38, v39 :: v_dual_add_f32 v39, v76, v74
	s_delay_alu instid0(VALU_DEP_2)
	v_add_lshl_u32 v91, v16, v129, 3
	v_sub_f32_e32 v16, v73, v92
	v_add_f32_e32 v38, v75, v73
	scratch_store_b32 off, v110, off offset:152 ; 4-byte Folded Spill
	v_add_f32_e32 v39, v39, v93
	v_add_f32_e32 v69, v16, v17
	v_dual_add_f32 v16, v92, v89 :: v_dual_add_f32 v17, v93, v90
	s_delay_alu instid0(VALU_DEP_3) | instskip(NEXT) | instid1(VALU_DEP_2)
	v_dual_add_f32 v38, v38, v92 :: v_dual_add_f32 v39, v39, v90
	v_fma_f32 v16, -0.5, v16, v75
	s_delay_alu instid0(VALU_DEP_3) | instskip(NEXT) | instid1(VALU_DEP_3)
	v_fma_f32 v17, -0.5, v17, v76
	v_add_f32_e32 v38, v38, v89
	s_delay_alu instid0(VALU_DEP_4) | instskip(NEXT) | instid1(VALU_DEP_4)
	v_add_f32_e32 v39, v39, v97
	v_fmamk_f32 v67, v71, 0x3f737871, v16
	s_delay_alu instid0(VALU_DEP_4) | instskip(NEXT) | instid1(VALU_DEP_4)
	v_fmamk_f32 v68, v72, 0xbf737871, v17
	v_add_f32_e32 v38, v38, v96
	v_fmac_f32_e32 v16, 0xbf737871, v71
	v_fmac_f32_e32 v17, 0x3f737871, v72
	v_fmac_f32_e32 v67, 0x3f167918, v87
	v_fmac_f32_e32 v68, 0xbf167918, v88
	s_delay_alu instid0(VALU_DEP_4) | instskip(NEXT) | instid1(VALU_DEP_4)
	v_fmac_f32_e32 v16, 0xbf167918, v87
	v_fmac_f32_e32 v17, 0x3f167918, v88
	s_delay_alu instid0(VALU_DEP_3) | instskip(NEXT) | instid1(VALU_DEP_2)
	v_dual_fmac_f32 v67, 0x3e9e377a, v69 :: v_dual_fmac_f32 v68, 0x3e9e377a, v70
	v_dual_fmac_f32 v16, 0x3e9e377a, v69 :: v_dual_fmac_f32 v17, 0x3e9e377a, v70
	v_mul_f32_e32 v70, v83, v49
	ds_store_2addr_b64 v91, v[38:39], v[67:68] offset1:11
	v_dual_sub_f32 v38, v92, v73 :: v_dual_sub_f32 v39, v89, v96
	v_add_f32_e32 v67, v73, v96
	v_dual_add_f32 v73, v74, v97 :: v_dual_sub_f32 v68, v93, v74
	v_sub_f32_e32 v74, v90, v97
	s_delay_alu instid0(VALU_DEP_4) | instskip(NEXT) | instid1(VALU_DEP_4)
	v_add_f32_e32 v89, v38, v39
	v_fma_f32 v38, -0.5, v67, v75
	s_delay_alu instid0(VALU_DEP_4)
	v_fma_f32 v39, -0.5, v73, v76
	ds_store_b64 v91, v[16:17] offset:352
	v_dual_add_f32 v73, v68, v74 :: v_dual_and_b32 v16, 0xffff, v124
	v_fmamk_f32 v67, v87, 0xbf737871, v38
	v_fmac_f32_e32 v38, 0x3f737871, v87
	v_fmamk_f32 v68, v88, 0x3f737871, v39
	v_fmac_f32_e32 v39, 0xbf737871, v88
	v_mul_u32_u24_e32 v16, 55, v16
	v_fmac_f32_e32 v70, v84, v48
	v_fmac_f32_e32 v38, 0xbf167918, v71
	;; [unrolled: 1-line block ×4, first 2 shown]
	v_add_lshl_u32 v87, v16, v130, 3
	v_mul_f32_e32 v16, v84, v49
	v_fmac_f32_e32 v38, 0x3e9e377a, v89
	v_fmac_f32_e32 v67, 0x3f167918, v71
	;; [unrolled: 1-line block ×3, first 2 shown]
	v_mul_f32_e32 v71, v79, v53
	v_dual_fmac_f32 v68, 0x3e9e377a, v73 :: v_dual_sub_f32 v73, v70, v99
	s_delay_alu instid0(VALU_DEP_4)
	v_fmac_f32_e32 v67, 0x3e9e377a, v89
	scratch_store_b32 off, v91, off offset:156 ; 4-byte Folded Spill
	v_fmac_f32_e32 v71, v80, v52
	ds_store_2addr_b64 v91, v[67:68], v[38:39] offset0:22 offset1:33
	v_fma_f32 v67, v83, v48, -v16
	v_mul_f32_e32 v16, v80, v53
	v_mul_f32_e32 v80, v36, v47
	s_delay_alu instid0(VALU_DEP_3) | instskip(NEXT) | instid1(VALU_DEP_3)
	v_sub_f32_e32 v38, v67, v98
	v_fma_f32 v68, v79, v52, -v16
	v_add_f32_e32 v16, v94, v67
	v_sub_f32_e32 v76, v94, v67
	v_sub_f32_e32 v75, v71, v99
	;; [unrolled: 1-line block ×3, first 2 shown]
	v_add_f32_e32 v17, v68, v98
	v_add_f32_e32 v69, v77, v68
	v_fma_f32 v16, -0.5, v16, v77
	v_sub_f32_e32 v79, v68, v98
	s_delay_alu instid0(VALU_DEP_4) | instskip(SKIP_1) | instid1(VALU_DEP_1)
	v_fma_f32 v77, -0.5, v17, v77
	v_sub_f32_e32 v17, v94, v68
	v_dual_add_f32 v72, v78, v71 :: v_dual_add_f32 v39, v17, v38
	v_add_f32_e32 v17, v95, v70
	v_add_f32_e32 v38, v71, v99
	s_delay_alu instid0(VALU_DEP_2) | instskip(NEXT) | instid1(VALU_DEP_2)
	v_fma_f32 v17, -0.5, v17, v78
	v_fmac_f32_e32 v78, -0.5, v38
	v_sub_f32_e32 v38, v95, v71
	s_delay_alu instid0(VALU_DEP_1) | instskip(SKIP_3) | instid1(VALU_DEP_3)
	v_add_f32_e32 v73, v38, v73
	v_fmamk_f32 v38, v74, 0xbf737871, v77
	v_fmac_f32_e32 v77, 0x3f737871, v74
	v_fmac_f32_e32 v80, v37, v46
	;; [unrolled: 1-line block ×3, first 2 shown]
	s_delay_alu instid0(VALU_DEP_3) | instskip(NEXT) | instid1(VALU_DEP_2)
	v_fmac_f32_e32 v77, 0xbf167918, v75
	v_fmac_f32_e32 v38, 0x3e9e377a, v39
	s_delay_alu instid0(VALU_DEP_2) | instskip(SKIP_2) | instid1(VALU_DEP_2)
	v_fmac_f32_e32 v77, 0x3e9e377a, v39
	v_fmamk_f32 v39, v76, 0x3f737871, v78
	v_fmac_f32_e32 v78, 0xbf737871, v76
	v_fmac_f32_e32 v39, 0xbf167918, v79
	s_delay_alu instid0(VALU_DEP_2) | instskip(NEXT) | instid1(VALU_DEP_2)
	v_fmac_f32_e32 v78, 0x3f167918, v79
	v_fmac_f32_e32 v39, 0x3e9e377a, v73
	s_delay_alu instid0(VALU_DEP_2) | instskip(SKIP_4) | instid1(VALU_DEP_3)
	v_fmac_f32_e32 v78, 0x3e9e377a, v73
	ds_store_2addr_b64 v87, v[38:39], v[77:78] offset0:22 offset1:33
	v_mul_f32_e32 v38, v82, v45
	v_mul_f32_e32 v77, v81, v45
	v_sub_f32_e32 v39, v71, v95
	v_fma_f32 v73, v81, v44, -v38
	s_delay_alu instid0(VALU_DEP_3) | instskip(SKIP_1) | instid1(VALU_DEP_2)
	v_dual_fmac_f32 v77, v82, v44 :: v_dual_mul_f32 v38, v37, v47
	v_dual_mul_f32 v82, v85, v41 :: v_dual_add_f32 v37, v72, v95
	v_fma_f32 v78, v36, v46, -v38
	v_mul_f32_e32 v36, v86, v41
	v_sub_f32_e32 v38, v68, v94
	v_sub_f32_e32 v68, v99, v70
	v_add_f32_e32 v37, v37, v70
	s_delay_alu instid0(VALU_DEP_4) | instskip(NEXT) | instid1(VALU_DEP_3)
	v_fma_f32 v81, v85, v40, -v36
	v_add_f32_e32 v68, v39, v68
	v_fmamk_f32 v39, v79, 0xbf737871, v17
	v_fmac_f32_e32 v17, 0x3f737871, v79
	v_add_f32_e32 v37, v37, v99
	s_delay_alu instid0(VALU_DEP_3) | instskip(NEXT) | instid1(VALU_DEP_3)
	v_dual_fmac_f32 v39, 0xbf167918, v76 :: v_dual_add_f32 v36, v69, v94
	v_fmac_f32_e32 v17, 0x3f167918, v76
	s_delay_alu instid0(VALU_DEP_2) | instskip(SKIP_2) | instid1(VALU_DEP_4)
	v_dual_fmac_f32 v39, 0x3e9e377a, v68 :: v_dual_add_f32 v36, v36, v67
	v_sub_f32_e32 v67, v98, v67
	v_fmac_f32_e32 v82, v86, v40
	v_dual_fmac_f32 v17, 0x3e9e377a, v68 :: v_dual_sub_f32 v72, v78, v81
	s_delay_alu instid0(VALU_DEP_3) | instskip(SKIP_1) | instid1(VALU_DEP_4)
	v_dual_add_f32 v36, v36, v98 :: v_dual_add_f32 v67, v38, v67
	v_fmamk_f32 v38, v75, 0x3f737871, v16
	v_sub_f32_e32 v68, v80, v82
	s_delay_alu instid0(VALU_DEP_2) | instskip(NEXT) | instid1(VALU_DEP_1)
	v_fmac_f32_e32 v38, 0x3f167918, v74
	v_fmac_f32_e32 v38, 0x3e9e377a, v67
	ds_store_2addr_b64 v87, v[36:37], v[38:39] offset1:11
	v_mul_f32_e32 v36, v108, v43
	v_mul_f32_e32 v38, v107, v43
	s_delay_alu instid0(VALU_DEP_2) | instskip(SKIP_1) | instid1(VALU_DEP_2)
	v_fma_f32 v39, v107, v42, -v36
	v_sub_f32_e32 v36, v78, v73
	v_dual_sub_f32 v35, v39, v81 :: v_dual_and_b32 v34, 0xffff, v34
	v_sub_f32_e32 v37, v81, v39
	s_delay_alu instid0(VALU_DEP_1) | instskip(NEXT) | instid1(VALU_DEP_1)
	v_dual_fmac_f32 v16, 0xbf737871, v75 :: v_dual_add_f32 v37, v36, v37
	v_fmac_f32_e32 v16, 0xbf167918, v74
	s_delay_alu instid0(VALU_DEP_1) | instskip(SKIP_2) | instid1(VALU_DEP_1)
	v_dual_fmac_f32 v16, 0x3e9e377a, v67 :: v_dual_add_f32 v67, v32, v73
	ds_store_b64 v87, v[16:17] offset:352
	v_dual_add_f32 v16, v78, v81 :: v_dual_add_f32 v17, v73, v39
	v_fma_f32 v16, -0.5, v16, v32
	s_delay_alu instid0(VALU_DEP_2)
	v_fma_f32 v32, -0.5, v17, v32
	v_add_f32_e32 v17, v80, v82
	v_fmac_f32_e32 v38, v108, v42
	v_add_f32_e32 v70, v33, v77
	v_sub_f32_e32 v74, v73, v39
	v_fmamk_f32 v36, v68, 0xbf737871, v32
	s_delay_alu instid0(VALU_DEP_4) | instskip(SKIP_1) | instid1(VALU_DEP_2)
	v_dual_fmac_f32 v32, 0x3f737871, v68 :: v_dual_sub_f32 v69, v77, v38
	v_fma_f32 v17, -0.5, v17, v33
	v_fmac_f32_e32 v36, 0x3f167918, v69
	s_delay_alu instid0(VALU_DEP_3) | instskip(NEXT) | instid1(VALU_DEP_2)
	v_fmac_f32_e32 v32, 0xbf167918, v69
	v_fmac_f32_e32 v36, 0x3e9e377a, v37
	s_delay_alu instid0(VALU_DEP_2) | instskip(NEXT) | instid1(VALU_DEP_1)
	v_dual_fmac_f32 v32, 0x3e9e377a, v37 :: v_dual_add_f32 v37, v77, v38
	v_fmac_f32_e32 v33, -0.5, v37
	v_sub_f32_e32 v37, v80, v77
	v_sub_f32_e32 v71, v82, v38
	s_delay_alu instid0(VALU_DEP_1) | instskip(NEXT) | instid1(VALU_DEP_4)
	v_add_f32_e32 v71, v37, v71
	v_fmamk_f32 v37, v72, 0x3f737871, v33
	v_fmac_f32_e32 v33, 0xbf737871, v72
	s_delay_alu instid0(VALU_DEP_2) | instskip(NEXT) | instid1(VALU_DEP_2)
	v_fmac_f32_e32 v37, 0xbf167918, v74
	v_fmac_f32_e32 v33, 0x3f167918, v74
	s_delay_alu instid0(VALU_DEP_2) | instskip(NEXT) | instid1(VALU_DEP_2)
	v_fmac_f32_e32 v37, 0x3e9e377a, v71
	v_fmac_f32_e32 v33, 0x3e9e377a, v71
	v_lshlrev_b32_e32 v71, 3, v34
	s_clause 0x1
	scratch_store_b32 off, v87, off offset:160
	scratch_store_b32 off, v71, off offset:164
	ds_store_2addr_b64 v71, v[36:37], v[32:33] offset0:22 offset1:33
	v_sub_f32_e32 v37, v38, v82
	v_dual_add_f32 v33, v70, v80 :: v_dual_sub_f32 v34, v73, v78
	v_sub_f32_e32 v36, v77, v80
	s_delay_alu instid0(VALU_DEP_1) | instskip(NEXT) | instid1(VALU_DEP_1)
	v_dual_add_f32 v33, v33, v82 :: v_dual_add_f32 v36, v36, v37
	v_dual_add_f32 v33, v33, v38 :: v_dual_add_f32 v38, v34, v35
	v_dual_fmamk_f32 v35, v74, 0xbf737871, v17 :: v_dual_add_f32 v32, v67, v78
	v_fmamk_f32 v34, v69, 0x3f737871, v16
	v_fmac_f32_e32 v16, 0xbf737871, v69
	v_fmac_f32_e32 v17, 0x3f737871, v74
	s_delay_alu instid0(VALU_DEP_4) | instskip(NEXT) | instid1(VALU_DEP_4)
	v_dual_fmac_f32 v35, 0xbf167918, v72 :: v_dual_add_f32 v32, v32, v81
	v_fmac_f32_e32 v34, 0x3f167918, v68
	s_delay_alu instid0(VALU_DEP_4) | instskip(NEXT) | instid1(VALU_DEP_4)
	v_fmac_f32_e32 v16, 0xbf167918, v68
	v_fmac_f32_e32 v17, 0x3f167918, v72
	s_delay_alu instid0(VALU_DEP_4) | instskip(NEXT) | instid1(VALU_DEP_4)
	v_dual_fmac_f32 v35, 0x3e9e377a, v36 :: v_dual_add_f32 v32, v32, v39
	v_fmac_f32_e32 v34, 0x3e9e377a, v38
	s_delay_alu instid0(VALU_DEP_3)
	v_dual_fmac_f32 v16, 0x3e9e377a, v38 :: v_dual_fmac_f32 v17, 0x3e9e377a, v36
	ds_store_2addr_b64 v71, v[32:33], v[34:35] offset1:11
	ds_store_b64 v71, v[16:17] offset:352
	global_wb scope:SCOPE_SE
	s_wait_storecnt_dscnt 0x0
	s_barrier_signal -1
	s_barrier_wait -1
	global_inv scope:SCOPE_SE
	scratch_store_b32 off, v131, off offset:88 ; 4-byte Folded Spill
	s_clause 0x1
	global_load_b128 v[32:35], v117, s[0:1] offset:352
	global_load_b128 v[36:39], v117, s[0:1] offset:368
	ds_load_2addr_b64 v[67:70], v147 offset0:38 offset1:93
	ds_load_2addr_b64 v[92:95], v148 offset0:2 offset1:57
	;; [unrolled: 1-line block ×3, first 2 shown]
	ds_load_2addr_b64 v[102:105], v227 offset1:55
	s_wait_loadcnt_dscnt 0x103
	v_mul_f32_e32 v16, v68, v35
	v_mul_f32_e32 v123, v67, v35
	;; [unrolled: 1-line block ×3, first 2 shown]
	s_wait_loadcnt_dscnt 0x2
	v_mul_f32_e32 v131, v94, v37
	v_fma_f32 v124, v67, v34, -v16
	v_dual_mul_f32 v16, v70, v35 :: v_dual_fmac_f32 v123, v68, v34
	v_fmac_f32_e32 v119, v70, v34
	s_delay_alu instid0(VALU_DEP_4) | instskip(NEXT) | instid1(VALU_DEP_3)
	v_fmac_f32_e32 v131, v95, v36
	v_fma_f32 v118, v69, v34, -v16
	ds_load_2addr_b64 v[67:70], v146 offset0:76 offset1:131
	s_wait_dscnt 0x0
	v_mul_f32_e32 v16, v68, v39
	v_mul_f32_e32 v125, v67, v39
	s_delay_alu instid0(VALU_DEP_2) | instskip(NEXT) | instid1(VALU_DEP_2)
	v_fma_f32 v126, v67, v38, -v16
	v_dual_mul_f32 v16, v70, v39 :: v_dual_fmac_f32 v125, v68, v38
	v_mul_f32_e32 v133, v86, v33
	s_delay_alu instid0(VALU_DEP_2) | instskip(NEXT) | instid1(VALU_DEP_3)
	v_fma_f32 v121, v69, v38, -v16
	v_sub_f32_e32 v68, v125, v131
	v_mul_u32_u24_e32 v16, 0x29e5, v66
	s_delay_alu instid0(VALU_DEP_4) | instskip(NEXT) | instid1(VALU_DEP_2)
	v_fmac_f32_e32 v133, v87, v32
	v_lshrrev_b32_e32 v16, 16, v16
	s_delay_alu instid0(VALU_DEP_2) | instskip(NEXT) | instid1(VALU_DEP_2)
	v_sub_f32_e32 v67, v133, v123
	v_sub_nc_u16 v17, v120, v16
	s_delay_alu instid0(VALU_DEP_2) | instskip(SKIP_1) | instid1(VALU_DEP_3)
	v_add_f32_e32 v130, v67, v68
	v_add_f32_e32 v68, v103, v133
	v_lshrrev_b16 v17, 1, v17
	s_delay_alu instid0(VALU_DEP_2) | instskip(NEXT) | instid1(VALU_DEP_2)
	v_dual_add_f32 v68, v68, v123 :: v_dual_sub_f32 v145, v133, v125
	v_add_nc_u16 v66, v17, v16
	v_mul_f32_e32 v16, v87, v33
	s_delay_alu instid0(VALU_DEP_3) | instskip(NEXT) | instid1(VALU_DEP_3)
	v_dual_add_f32 v68, v68, v131 :: v_dual_and_b32 v87, 0xff, v65
	v_lshrrev_b16 v66, 5, v66
	s_delay_alu instid0(VALU_DEP_3)
	v_fma_f32 v127, v86, v32, -v16
	v_and_b32_e32 v86, 0xff, v64
	v_mul_f32_e32 v16, v95, v37
	v_add_f32_e32 v144, v68, v125
	v_mul_lo_u16 v66, v66, 55
	v_add_f32_e32 v67, v102, v127
	v_sub_f32_e32 v159, v127, v126
	v_fma_f32 v128, v94, v36, -v16
	v_sub_f32_e32 v16, v127, v124
	v_sub_nc_u16 v132, v120, v66
	v_dual_add_f32 v67, v67, v124 :: v_dual_lshlrev_b32 v72, 5, v86
	s_delay_alu instid0(VALU_DEP_4) | instskip(NEXT) | instid1(VALU_DEP_3)
	v_dual_sub_f32 v17, v126, v128 :: v_dual_mul_f32 v122, v69, v39
	v_lshlrev_b16 v64, 5, v132
	s_delay_alu instid0(VALU_DEP_3) | instskip(SKIP_1) | instid1(VALU_DEP_4)
	v_add_f32_e32 v67, v67, v128
	v_sub_f32_e32 v161, v124, v128
	v_dual_add_f32 v129, v16, v17 :: v_dual_fmac_f32 v122, v70, v38
	s_delay_alu instid0(VALU_DEP_4) | instskip(NEXT) | instid1(VALU_DEP_4)
	v_dual_add_f32 v17, v123, v131 :: v_dual_and_b32 v64, 0xffff, v64
	v_dual_add_f32 v16, v124, v128 :: v_dual_add_f32 v143, v67, v126
	v_sub_f32_e32 v160, v123, v131
	s_delay_alu instid0(VALU_DEP_3) | instskip(NEXT) | instid1(VALU_DEP_4)
	v_fma_f32 v17, -0.5, v17, v103
	v_add_co_u32 v64, s2, s0, v64
	s_wait_alu 0xf1ff
	v_add_co_ci_u32_e64 v65, null, s1, 0, s2
	s_clause 0x1
	global_load_b128 v[68:71], v[64:65], off offset:352
	global_load_b128 v[64:67], v[64:65], off offset:368
	v_fma_f32 v16, -0.5, v16, v102
	v_dual_fmamk_f32 v156, v159, 0xbf737871, v17 :: v_dual_lshlrev_b32 v73, 5, v87
	ds_load_b64 v[157:158], v227 offset:10560
	s_clause 0x3
	global_load_b128 v[88:91], v72, s[0:1] offset:352
	global_load_b128 v[80:83], v72, s[0:1] offset:368
	;; [unrolled: 1-line block ×4, first 2 shown]
	v_fmamk_f32 v155, v145, 0x3f737871, v16
	v_fmac_f32_e32 v156, 0xbf167918, v161
	ds_load_2addr_b64 v[134:137], v150 offset0:74 offset1:129
	ds_load_2addr_b64 v[138:141], v148 offset0:112 offset1:167
	;; [unrolled: 1-line block ×7, first 2 shown]
	global_wb scope:SCOPE_SE
	s_wait_storecnt 0x0
	s_wait_loadcnt_dscnt 0x0
	s_barrier_signal -1
	v_fmac_f32_e32 v155, 0x3f167918, v160
	v_fmac_f32_e32 v156, 0x3e9e377a, v130
	s_barrier_wait -1
	global_inv scope:SCOPE_SE
	v_fmac_f32_e32 v16, 0xbf737871, v145
	v_fmac_f32_e32 v155, 0x3e9e377a, v129
	;; [unrolled: 1-line block ×3, first 2 shown]
	v_sub_f32_e32 v123, v123, v133
	ds_store_2addr_b64 v227, v[143:144], v[155:156] offset1:55
	v_mul_f32_e32 v143, v135, v33
	s_delay_alu instid0(VALU_DEP_1) | instskip(SKIP_3) | instid1(VALU_DEP_4)
	v_fma_f32 v155, v134, v32, -v143
	v_mul_f32_e32 v143, v139, v37
	v_mul_f32_e32 v134, v134, v33
	;; [unrolled: 1-line block ×3, first 2 shown]
	v_add_f32_e32 v163, v104, v155
	s_delay_alu instid0(VALU_DEP_4) | instskip(NEXT) | instid1(VALU_DEP_4)
	v_fma_f32 v156, v138, v36, -v143
	v_fmac_f32_e32 v134, v135, v32
	v_sub_f32_e32 v143, v155, v118
	v_fmac_f32_e32 v165, v139, v36
	s_delay_alu instid0(VALU_DEP_4) | instskip(NEXT) | instid1(VALU_DEP_4)
	v_sub_f32_e32 v144, v121, v156
	v_dual_sub_f32 v164, v156, v121 :: v_dual_sub_f32 v135, v134, v119
	s_delay_alu instid0(VALU_DEP_3) | instskip(NEXT) | instid1(VALU_DEP_3)
	v_dual_add_f32 v138, v119, v165 :: v_dual_add_f32 v167, v105, v134
	v_add_f32_e32 v162, v143, v144
	v_dual_add_f32 v143, v118, v156 :: v_dual_add_f32 v144, v155, v121
	v_dual_sub_f32 v169, v134, v122 :: v_dual_sub_f32 v170, v119, v165
	v_sub_f32_e32 v171, v118, v156
	s_delay_alu instid0(VALU_DEP_3) | instskip(NEXT) | instid1(VALU_DEP_4)
	v_fma_f32 v143, -0.5, v143, v104
	v_fma_f32 v104, -0.5, v144, v104
	v_dual_sub_f32 v144, v118, v155 :: v_dual_sub_f32 v155, v155, v121
	s_delay_alu instid0(VALU_DEP_1) | instskip(SKIP_2) | instid1(VALU_DEP_1)
	v_add_f32_e32 v164, v144, v164
	v_fma_f32 v144, -0.5, v138, v105
	v_sub_f32_e32 v138, v122, v165
	v_add_f32_e32 v166, v135, v138
	v_add_f32_e32 v135, v134, v122
	s_delay_alu instid0(VALU_DEP_1) | instskip(SKIP_2) | instid1(VALU_DEP_3)
	v_dual_sub_f32 v138, v165, v122 :: v_dual_fmac_f32 v105, -0.5, v135
	v_dual_sub_f32 v135, v119, v134 :: v_dual_fmamk_f32 v134, v169, 0x3f737871, v143
	v_fmac_f32_e32 v143, 0xbf737871, v169
	v_fmamk_f32 v139, v171, 0x3f737871, v105
	s_delay_alu instid0(VALU_DEP_3)
	v_add_f32_e32 v168, v135, v138
	v_dual_fmamk_f32 v138, v170, 0xbf737871, v104 :: v_dual_fmac_f32 v105, 0xbf737871, v171
	v_fmac_f32_e32 v104, 0x3f737871, v170
	v_fmamk_f32 v135, v155, 0xbf737871, v144
	v_fmac_f32_e32 v144, 0x3f737871, v155
	v_fmac_f32_e32 v143, 0xbf167918, v170
	;; [unrolled: 1-line block ×4, first 2 shown]
	s_delay_alu instid0(VALU_DEP_4) | instskip(NEXT) | instid1(VALU_DEP_4)
	v_fmac_f32_e32 v144, 0x3f167918, v171
	v_fmac_f32_e32 v143, 0x3e9e377a, v162
	s_delay_alu instid0(VALU_DEP_4) | instskip(NEXT) | instid1(VALU_DEP_4)
	v_fmac_f32_e32 v105, 0x3e9e377a, v168
	v_fmac_f32_e32 v104, 0x3e9e377a, v164
	s_delay_alu instid0(VALU_DEP_4) | instskip(SKIP_2) | instid1(VALU_DEP_1)
	v_fmac_f32_e32 v144, 0x3e9e377a, v166
	ds_store_2addr_b64 v150, v[104:105], v[143:144] offset0:184 offset1:239
	v_dual_add_f32 v104, v127, v126 :: v_dual_add_f32 v105, v133, v125
	v_fma_f32 v102, -0.5, v104, v102
	s_delay_alu instid0(VALU_DEP_2) | instskip(SKIP_4) | instid1(VALU_DEP_4)
	v_fma_f32 v103, -0.5, v105, v103
	v_mul_f32_e32 v104, v93, v71
	v_mul_f32_e32 v105, v92, v71
	v_dual_fmac_f32 v17, 0x3f167918, v161 :: v_dual_fmac_f32 v134, 0x3f167918, v170
	v_fmac_f32_e32 v135, 0xbf167918, v171
	v_fma_f32 v104, v92, v70, -v104
	s_delay_alu instid0(VALU_DEP_4) | instskip(SKIP_2) | instid1(VALU_DEP_2)
	v_dual_fmac_f32 v105, v93, v70 :: v_dual_sub_f32 v92, v124, v127
	v_dual_sub_f32 v93, v128, v126 :: v_dual_sub_f32 v124, v131, v125
	v_mul_f32_e32 v131, v140, v81
	v_add_f32_e32 v93, v92, v93
	s_delay_alu instid0(VALU_DEP_3) | instskip(SKIP_1) | instid1(VALU_DEP_2)
	v_dual_add_f32 v123, v123, v124 :: v_dual_fmamk_f32 v92, v160, 0xbf737871, v102
	v_fmac_f32_e32 v102, 0x3f737871, v160
	v_fmac_f32_e32 v92, 0x3f167918, v145
	s_delay_alu instid0(VALU_DEP_2) | instskip(NEXT) | instid1(VALU_DEP_2)
	v_fmac_f32_e32 v102, 0xbf167918, v145
	v_fmac_f32_e32 v92, 0x3e9e377a, v93
	s_delay_alu instid0(VALU_DEP_2) | instskip(SKIP_2) | instid1(VALU_DEP_2)
	v_fmac_f32_e32 v102, 0x3e9e377a, v93
	v_fmamk_f32 v93, v161, 0x3f737871, v103
	v_fmac_f32_e32 v103, 0xbf737871, v161
	v_fmac_f32_e32 v93, 0xbf167918, v159
	s_delay_alu instid0(VALU_DEP_2) | instskip(NEXT) | instid1(VALU_DEP_2)
	v_fmac_f32_e32 v103, 0x3f167918, v159
	v_fmac_f32_e32 v93, 0x3e9e377a, v123
	s_delay_alu instid0(VALU_DEP_2) | instskip(SKIP_4) | instid1(VALU_DEP_3)
	v_fmac_f32_e32 v103, 0x3e9e377a, v123
	ds_store_2addr_b64 v227, v[92:93], v[102:103] offset0:110 offset1:165
	v_dual_add_f32 v92, v163, v118 :: v_dual_mul_f32 v103, v157, v67
	v_fmac_f32_e32 v16, 0xbf167918, v160
	v_fmac_f32_e32 v138, 0x3f167918, v169
	v_dual_add_f32 v92, v92, v156 :: v_dual_fmac_f32 v103, v158, v66
	s_delay_alu instid0(VALU_DEP_3) | instskip(NEXT) | instid1(VALU_DEP_3)
	v_dual_add_f32 v93, v167, v119 :: v_dual_fmac_f32 v16, 0x3e9e377a, v129
	v_dual_fmac_f32 v17, 0x3e9e377a, v130 :: v_dual_fmac_f32 v138, 0x3e9e377a, v164
	s_delay_alu instid0(VALU_DEP_3) | instskip(NEXT) | instid1(VALU_DEP_3)
	v_add_f32_e32 v92, v92, v121
	v_add_f32_e32 v93, v93, v165
	s_delay_alu instid0(VALU_DEP_1) | instskip(SKIP_3) | instid1(VALU_DEP_2)
	v_add_f32_e32 v93, v93, v122
	ds_store_2addr_b64 v142, v[16:17], v[92:93] offset0:92 offset1:147
	v_mul_f32_e32 v16, v158, v67
	v_lshlrev_b32_e32 v158, 3, v86
	v_fma_f32 v102, v157, v66, -v16
	v_mul_f32_e32 v16, v109, v65
	s_delay_alu instid0(VALU_DEP_1) | instskip(SKIP_2) | instid1(VALU_DEP_2)
	v_fma_f32 v118, v108, v64, -v16
	v_dual_mul_f32 v16, v154, v69 :: v_dual_fmac_f32 v139, 0xbf167918, v155
	v_dual_fmac_f32 v135, 0x3e9e377a, v166 :: v_dual_mul_f32 v108, v108, v65
	v_fma_f32 v119, v153, v68, -v16
	s_delay_alu instid0(VALU_DEP_4) | instskip(NEXT) | instid1(VALU_DEP_4)
	v_add_f32_e32 v16, v104, v118
	v_dual_fmac_f32 v134, 0x3e9e377a, v162 :: v_dual_fmac_f32 v139, 0x3e9e377a, v168
	s_delay_alu instid0(VALU_DEP_3) | instskip(SKIP_1) | instid1(VALU_DEP_4)
	v_dual_fmac_f32 v108, v109, v64 :: v_dual_add_f32 v17, v119, v102
	v_add_f32_e32 v121, v84, v119
	v_fma_f32 v16, -0.5, v16, v84
	v_sub_f32_e32 v92, v104, v119
	s_delay_alu instid0(VALU_DEP_4) | instskip(SKIP_4) | instid1(VALU_DEP_3)
	v_sub_f32_e32 v123, v108, v103
	v_fma_f32 v84, -0.5, v17, v84
	v_mul_f32_e32 v109, v153, v69
	v_add_f32_e32 v17, v105, v108
	v_dual_sub_f32 v124, v105, v108 :: v_dual_sub_f32 v127, v119, v102
	v_dual_sub_f32 v126, v104, v118 :: v_dual_fmac_f32 v109, v154, v68
	v_sub_f32_e32 v93, v118, v102
	s_delay_alu instid0(VALU_DEP_4)
	v_fma_f32 v17, -0.5, v17, v85
	ds_store_2addr_b64 v150, v[134:135], v[138:139] offset0:74 offset1:129
	v_mul_f32_e32 v135, v98, v83
	v_dual_add_f32 v93, v92, v93 :: v_dual_add_f32 v92, v109, v103
	v_add_f32_e32 v122, v85, v109
	v_sub_f32_e32 v125, v109, v103
	s_delay_alu instid0(VALU_DEP_4) | instskip(NEXT) | instid1(VALU_DEP_4)
	v_fmac_f32_e32 v135, v99, v82
	v_dual_fmac_f32 v85, -0.5, v92 :: v_dual_sub_f32 v92, v105, v109
	s_delay_alu instid0(VALU_DEP_1) | instskip(SKIP_2) | instid1(VALU_DEP_2)
	v_add_f32_e32 v123, v92, v123
	v_fmamk_f32 v92, v124, 0xbf737871, v84
	v_fmac_f32_e32 v84, 0x3f737871, v124
	v_fmac_f32_e32 v92, 0x3f167918, v125
	s_delay_alu instid0(VALU_DEP_1) | instskip(NEXT) | instid1(VALU_DEP_3)
	v_fmac_f32_e32 v92, 0x3e9e377a, v93
	v_fmac_f32_e32 v84, 0xbf167918, v125
	s_delay_alu instid0(VALU_DEP_1) | instskip(SKIP_1) | instid1(VALU_DEP_1)
	v_fmac_f32_e32 v84, 0x3e9e377a, v93
	v_fmamk_f32 v93, v126, 0x3f737871, v85
	v_fmac_f32_e32 v93, 0xbf167918, v127
	v_fmac_f32_e32 v85, 0xbf737871, v126
	s_delay_alu instid0(VALU_DEP_2) | instskip(NEXT) | instid1(VALU_DEP_2)
	v_fmac_f32_e32 v93, 0x3e9e377a, v123
	v_fmac_f32_e32 v85, 0x3f167918, v127
	s_delay_alu instid0(VALU_DEP_1) | instskip(SKIP_1) | instid1(VALU_DEP_1)
	v_fmac_f32_e32 v85, 0x3e9e377a, v123
	v_and_b32_e32 v123, 0xffff, v132
	v_lshlrev_b32_e32 v156, 3, v123
	s_delay_alu instid0(VALU_DEP_1) | instskip(SKIP_3) | instid1(VALU_DEP_1)
	v_add_nc_u32_e32 v123, 0x2000, v156
	scratch_store_b32 off, v156, off offset:168 ; 4-byte Folded Spill
	ds_store_2addr_b64 v123, v[92:93], v[84:85] offset0:186 offset1:241
	v_mul_f32_e32 v84, v137, v89
	v_fma_f32 v128, v136, v88, -v84
	v_mul_f32_e32 v84, v141, v81
	s_delay_alu instid0(VALU_DEP_1) | instskip(SKIP_1) | instid1(VALU_DEP_1)
	v_fma_f32 v130, v140, v80, -v84
	v_mul_f32_e32 v84, v152, v77
	v_fma_f32 v132, v151, v76, -v84
	v_mul_f32_e32 v84, v111, v91
	s_delay_alu instid0(VALU_DEP_1) | instskip(SKIP_2) | instid1(VALU_DEP_3)
	v_fma_f32 v134, v110, v90, -v84
	v_dual_mul_f32 v110, v110, v91 :: v_dual_mul_f32 v129, v136, v89
	v_mul_f32_e32 v84, v113, v79
	v_dual_fmac_f32 v131, v141, v80 :: v_dual_sub_f32 v154, v134, v130
	s_delay_alu instid0(VALU_DEP_3) | instskip(NEXT) | instid1(VALU_DEP_3)
	v_dual_fmac_f32 v110, v111, v90 :: v_dual_fmac_f32 v129, v137, v88
	v_fma_f32 v111, v112, v78, -v84
	v_dual_mul_f32 v112, v112, v79 :: v_dual_mul_f32 v133, v151, v77
	v_dual_mul_f32 v84, v107, v73 :: v_dual_lshlrev_b32 v157, 3, v87
	v_sub_f32_e32 v86, v134, v128
	s_delay_alu instid0(VALU_DEP_3) | instskip(NEXT) | instid1(VALU_DEP_3)
	v_dual_fmac_f32 v112, v113, v78 :: v_dual_fmac_f32 v133, v152, v76
	v_fma_f32 v113, v106, v72, -v84
	v_mul_f32_e32 v106, v106, v73
	v_dual_mul_f32 v84, v99, v83 :: v_dual_add_nc_u32 v143, 0x1800, v157
	s_delay_alu instid0(VALU_DEP_4) | instskip(NEXT) | instid1(VALU_DEP_4)
	v_add_f32_e32 v139, v97, v133
	v_sub_f32_e32 v140, v111, v113
	s_delay_alu instid0(VALU_DEP_4) | instskip(NEXT) | instid1(VALU_DEP_4)
	v_fmac_f32_e32 v106, v107, v72
	v_fma_f32 v107, v98, v82, -v84
	v_dual_mul_f32 v84, v101, v75 :: v_dual_add_f32 v87, v134, v130
	v_sub_f32_e32 v151, v129, v135
	s_delay_alu instid0(VALU_DEP_3) | instskip(NEXT) | instid1(VALU_DEP_3)
	v_sub_f32_e32 v152, v128, v107
	v_fma_f32 v136, v100, v74, -v84
	v_mul_f32_e32 v100, v100, v75
	v_sub_f32_e32 v153, v110, v131
	s_delay_alu instid0(VALU_DEP_3)
	v_add_f32_e32 v85, v132, v136
	v_sub_f32_e32 v92, v113, v136
	v_add_f32_e32 v84, v111, v113
	v_dual_fmac_f32 v100, v101, v74 :: v_dual_add_f32 v101, v96, v132
	v_sub_f32_e32 v137, v112, v106
	v_sub_f32_e32 v141, v132, v136
	s_delay_alu instid0(VALU_DEP_4) | instskip(NEXT) | instid1(VALU_DEP_4)
	v_fma_f32 v84, -0.5, v84, v96
	v_sub_f32_e32 v138, v133, v100
	v_fma_f32 v96, -0.5, v85, v96
	v_sub_f32_e32 v85, v111, v132
	v_add_nc_u32_e32 v155, 0x1000, v158
	s_delay_alu instid0(VALU_DEP_2) | instskip(NEXT) | instid1(VALU_DEP_4)
	v_add_f32_e32 v93, v85, v92
	v_fmamk_f32 v92, v137, 0xbf737871, v96
	v_dual_fmac_f32 v96, 0x3f737871, v137 :: v_dual_add_f32 v85, v112, v106
	s_delay_alu instid0(VALU_DEP_2) | instskip(NEXT) | instid1(VALU_DEP_2)
	v_fmac_f32_e32 v92, 0x3f167918, v138
	v_fmac_f32_e32 v96, 0xbf167918, v138
	s_delay_alu instid0(VALU_DEP_3) | instskip(NEXT) | instid1(VALU_DEP_3)
	v_fma_f32 v85, -0.5, v85, v97
	v_fmac_f32_e32 v92, 0x3e9e377a, v93
	s_delay_alu instid0(VALU_DEP_3) | instskip(NEXT) | instid1(VALU_DEP_1)
	v_dual_fmac_f32 v96, 0x3e9e377a, v93 :: v_dual_add_f32 v93, v133, v100
	v_fmac_f32_e32 v97, -0.5, v93
	v_dual_sub_f32 v93, v112, v133 :: v_dual_sub_f32 v98, v106, v100
	s_delay_alu instid0(VALU_DEP_1) | instskip(SKIP_1) | instid1(VALU_DEP_2)
	v_dual_add_f32 v98, v93, v98 :: v_dual_fmamk_f32 v93, v140, 0x3f737871, v97
	v_fmac_f32_e32 v97, 0xbf737871, v140
	v_fmac_f32_e32 v93, 0xbf167918, v141
	s_delay_alu instid0(VALU_DEP_2) | instskip(NEXT) | instid1(VALU_DEP_2)
	v_fmac_f32_e32 v97, 0x3f167918, v141
	v_fmac_f32_e32 v93, 0x3e9e377a, v98
	s_delay_alu instid0(VALU_DEP_2)
	v_fmac_f32_e32 v97, 0x3e9e377a, v98
	v_sub_f32_e32 v98, v107, v130
	ds_store_2addr_b64 v143, v[92:93], v[96:97] offset0:167 offset1:222
	v_fma_f32 v92, -0.5, v87, v94
	v_add_f32_e32 v87, v128, v107
	v_add_f32_e32 v93, v110, v131
	;; [unrolled: 1-line block ×3, first 2 shown]
	s_delay_alu instid0(VALU_DEP_3) | instskip(SKIP_1) | instid1(VALU_DEP_4)
	v_fma_f32 v96, -0.5, v87, v94
	v_dual_add_f32 v87, v94, v128 :: v_dual_add_f32 v94, v95, v129
	v_fma_f32 v93, -0.5, v93, v95
	s_delay_alu instid0(VALU_DEP_4)
	v_fma_f32 v97, -0.5, v97, v95
	s_clause 0x1
	scratch_store_b32 off, v158, off offset:176
	scratch_store_b32 off, v157, off offset:172
	v_add_f32_e32 v87, v87, v134
	v_dual_add_f32 v94, v94, v110 :: v_dual_fmamk_f32 v99, v152, 0xbf737871, v93
	v_fmac_f32_e32 v93, 0x3f737871, v152
	s_delay_alu instid0(VALU_DEP_3) | instskip(SKIP_1) | instid1(VALU_DEP_3)
	v_add_f32_e32 v87, v87, v130
	v_sub_f32_e32 v95, v128, v134
	v_fmac_f32_e32 v93, 0x3f167918, v154
	s_delay_alu instid0(VALU_DEP_2) | instskip(NEXT) | instid1(VALU_DEP_4)
	v_dual_add_f32 v144, v95, v98 :: v_dual_add_f32 v95, v94, v131
	v_dual_add_f32 v94, v87, v107 :: v_dual_sub_f32 v87, v129, v110
	v_sub_f32_e32 v98, v135, v131
	s_delay_alu instid0(VALU_DEP_1) | instskip(SKIP_2) | instid1(VALU_DEP_2)
	v_add_f32_e32 v145, v87, v98
	v_dual_fmamk_f32 v98, v151, 0x3f737871, v92 :: v_dual_sub_f32 v87, v130, v107
	v_fmac_f32_e32 v92, 0xbf737871, v151
	v_dual_fmac_f32 v98, 0x3f167918, v153 :: v_dual_add_f32 v87, v86, v87
	v_fmamk_f32 v86, v153, 0xbf737871, v96
	v_fmac_f32_e32 v96, 0x3f737871, v153
	v_fmac_f32_e32 v99, 0xbf167918, v154
	s_delay_alu instid0(VALU_DEP_4) | instskip(NEXT) | instid1(VALU_DEP_4)
	v_dual_add_f32 v95, v95, v135 :: v_dual_fmac_f32 v98, 0x3e9e377a, v144
	v_fmac_f32_e32 v86, 0x3f167918, v151
	s_delay_alu instid0(VALU_DEP_4) | instskip(NEXT) | instid1(VALU_DEP_2)
	v_fmac_f32_e32 v96, 0xbf167918, v151
	v_dual_fmac_f32 v99, 0x3e9e377a, v145 :: v_dual_fmac_f32 v86, 0x3e9e377a, v87
	ds_store_2addr_b64 v155, v[94:95], v[98:99] offset0:38 offset1:93
	v_dual_sub_f32 v94, v110, v129 :: v_dual_sub_f32 v95, v131, v135
	v_dual_sub_f32 v98, v102, v118 :: v_dual_sub_f32 v99, v103, v108
	s_delay_alu instid0(VALU_DEP_2) | instskip(SKIP_4) | instid1(VALU_DEP_3)
	v_add_f32_e32 v94, v94, v95
	v_fmac_f32_e32 v96, 0x3e9e377a, v87
	v_fmamk_f32 v87, v154, 0x3f737871, v97
	v_fmac_f32_e32 v97, 0xbf737871, v154
	v_sub_f32_e32 v95, v133, v112
	v_fmac_f32_e32 v87, 0xbf167918, v152
	s_delay_alu instid0(VALU_DEP_3) | instskip(NEXT) | instid1(VALU_DEP_2)
	v_fmac_f32_e32 v97, 0x3f167918, v152
	v_fmac_f32_e32 v87, 0x3e9e377a, v94
	s_delay_alu instid0(VALU_DEP_2) | instskip(SKIP_4) | instid1(VALU_DEP_3)
	v_dual_fmac_f32 v97, 0x3e9e377a, v94 :: v_dual_sub_f32 v94, v132, v111
	ds_store_2addr_b64 v155, v[86:87], v[96:97] offset0:148 offset1:203
	v_sub_f32_e32 v96, v136, v113
	v_dual_sub_f32 v97, v100, v106 :: v_dual_add_f32 v86, v101, v111
	v_dual_add_f32 v87, v139, v112 :: v_dual_fmac_f32 v92, 0xbf167918, v153
	v_add_f32_e32 v96, v94, v96
	s_delay_alu instid0(VALU_DEP_3) | instskip(NEXT) | instid1(VALU_DEP_4)
	v_dual_fmamk_f32 v94, v138, 0x3f737871, v84 :: v_dual_add_f32 v97, v95, v97
	v_dual_fmamk_f32 v95, v141, 0xbf737871, v85 :: v_dual_add_f32 v86, v86, v113
	s_delay_alu instid0(VALU_DEP_2) | instskip(SKIP_1) | instid1(VALU_DEP_3)
	v_dual_add_f32 v87, v87, v106 :: v_dual_fmac_f32 v94, 0x3f167918, v137
	v_fmac_f32_e32 v84, 0xbf737871, v138
	v_fmac_f32_e32 v95, 0xbf167918, v140
	s_delay_alu instid0(VALU_DEP_4) | instskip(NEXT) | instid1(VALU_DEP_4)
	v_add_f32_e32 v86, v86, v136
	v_add_f32_e32 v87, v87, v100
	v_fmac_f32_e32 v94, 0x3e9e377a, v96
	v_fmac_f32_e32 v85, 0x3f737871, v141
	;; [unrolled: 1-line block ×5, first 2 shown]
	s_delay_alu instid0(VALU_DEP_4) | instskip(SKIP_4) | instid1(VALU_DEP_3)
	v_fmac_f32_e32 v85, 0x3f167918, v140
	ds_store_2addr_b64 v143, v[86:87], v[94:95] offset0:57 offset1:112
	v_dual_sub_f32 v94, v119, v104 :: v_dual_sub_f32 v95, v109, v105
	v_add_f32_e32 v86, v121, v104
	v_fmac_f32_e32 v84, 0x3e9e377a, v96
	v_add_f32_e32 v98, v94, v98
	v_dual_fmamk_f32 v94, v125, 0x3f737871, v16 :: v_dual_add_f32 v87, v122, v105
	v_dual_fmac_f32 v16, 0xbf737871, v125 :: v_dual_add_f32 v99, v95, v99
	v_fmamk_f32 v95, v127, 0xbf737871, v17
	s_delay_alu instid0(VALU_DEP_3) | instskip(NEXT) | instid1(VALU_DEP_4)
	v_fmac_f32_e32 v94, 0x3f167918, v124
	v_add_f32_e32 v87, v87, v108
	v_fmac_f32_e32 v17, 0x3f737871, v127
	v_fmac_f32_e32 v16, 0xbf167918, v124
	;; [unrolled: 1-line block ×4, first 2 shown]
	v_add_f32_e32 v87, v87, v103
	v_fmac_f32_e32 v17, 0x3f167918, v126
	v_fmac_f32_e32 v16, 0x3e9e377a, v98
	v_add_f32_e32 v86, v86, v118
	s_delay_alu instid0(VALU_DEP_3)
	v_dual_fmac_f32 v94, 0x3e9e377a, v98 :: v_dual_fmac_f32 v17, 0x3e9e377a, v99
	ds_store_b64 v158, v[92:93] offset:6160
	ds_store_b64 v157, v[84:85] offset:8360
	v_add_f32_e32 v86, v86, v102
	ds_store_b64 v156, v[16:17] offset:10560
	v_dual_fmac_f32 v95, 0xbf167918, v126 :: v_dual_lshlrev_b32 v16, 5, v115
	s_delay_alu instid0(VALU_DEP_1)
	v_fmac_f32_e32 v95, 0x3e9e377a, v99
	ds_store_2addr_b64 v123, v[86:87], v[94:95] offset0:76 offset1:131
	global_wb scope:SCOPE_SE
	s_wait_storecnt_dscnt 0x0
	s_barrier_signal -1
	s_barrier_wait -1
	global_inv scope:SCOPE_SE
	s_clause 0x1
	global_load_b128 v[84:87], v117, s[0:1] offset:2112
	global_load_b128 v[108:111], v117, s[0:1] offset:2128
	ds_load_2addr_b64 v[98:101], v147 offset0:38 offset1:93
	s_wait_loadcnt_dscnt 0x100
	v_mul_f32_e32 v17, v99, v87
	v_mul_f32_e32 v117, v98, v87
	s_delay_alu instid0(VALU_DEP_2) | instskip(NEXT) | instid1(VALU_DEP_2)
	v_fma_f32 v118, v98, v86, -v17
	v_fmac_f32_e32 v117, v99, v86
	s_clause 0x1
	global_load_b128 v[92:95], v16, s[0:1] offset:2112
	global_load_b128 v[96:99], v16, s[0:1] offset:2128
	s_wait_loadcnt 0x1
	v_mul_f32_e32 v16, v101, v95
	v_mul_f32_e32 v138, v100, v95
	s_delay_alu instid0(VALU_DEP_2) | instskip(NEXT) | instid1(VALU_DEP_2)
	v_fma_f32 v139, v100, v94, -v16
	v_fmac_f32_e32 v138, v101, v94
	ds_load_2addr_b64 v[100:103], v146 offset0:76 offset1:131
	s_wait_dscnt 0x0
	v_mul_f32_e32 v16, v101, v111
	v_mul_f32_e32 v119, v100, v111
	s_wait_loadcnt 0x0
	v_mul_f32_e32 v140, v102, v99
	s_delay_alu instid0(VALU_DEP_3) | instskip(NEXT) | instid1(VALU_DEP_3)
	v_fma_f32 v121, v100, v110, -v16
	v_dual_mul_f32 v16, v103, v99 :: v_dual_fmac_f32 v119, v101, v110
	s_delay_alu instid0(VALU_DEP_3) | instskip(NEXT) | instid1(VALU_DEP_2)
	v_fmac_f32_e32 v140, v103, v98
	v_fma_f32 v141, v102, v98, -v16
	v_lshlrev_b32_e32 v16, 5, v114
	ds_load_2addr_b64 v[112:115], v150 offset0:74 offset1:129
	s_clause 0x1
	global_load_b128 v[104:107], v16, s[0:1] offset:2112
	global_load_b128 v[100:103], v16, s[0:1] offset:2128
	ds_load_2addr_b64 v[128:131], v142 offset0:92 offset1:147
	ds_load_2addr_b64 v[132:135], v148 offset0:2 offset1:57
	s_wait_dscnt 0x2
	v_mul_f32_e32 v143, v112, v93
	s_wait_dscnt 0x1
	v_mul_f32_e32 v125, v130, v85
	s_wait_dscnt 0x0
	s_delay_alu instid0(VALU_DEP_2) | instskip(NEXT) | instid1(VALU_DEP_2)
	v_dual_mul_f32 v124, v134, v109 :: v_dual_fmac_f32 v143, v113, v92
	v_fmac_f32_e32 v125, v131, v84
	s_delay_alu instid0(VALU_DEP_2) | instskip(NEXT) | instid1(VALU_DEP_1)
	v_dual_mul_f32 v17, v113, v93 :: v_dual_fmac_f32 v124, v135, v108
	v_fma_f32 v144, v112, v92, -v17
	s_delay_alu instid0(VALU_DEP_1) | instskip(SKIP_2) | instid1(VALU_DEP_1)
	v_sub_f32_e32 v248, v144, v141
	s_wait_loadcnt 0x1
	v_mul_f32_e32 v16, v115, v105
	v_fma_f32 v17, v114, v104, -v16
	v_mul_f32_e32 v16, v114, v105
	s_delay_alu instid0(VALU_DEP_1)
	v_fmac_f32_e32 v16, v115, v104
	ds_load_2addr_b64 v[112:115], v148 offset0:112 offset1:167
	s_wait_dscnt 0x0
	v_mul_f32_e32 v122, v113, v97
	v_mul_f32_e32 v145, v112, v97
	s_wait_loadcnt 0x0
	v_dual_mul_f32 v137, v114, v101 :: v_dual_sub_f32 v154, v117, v124
	s_delay_alu instid0(VALU_DEP_3) | instskip(SKIP_1) | instid1(VALU_DEP_2)
	v_fma_f32 v151, v112, v96, -v122
	v_mul_f32_e32 v112, v115, v101
	v_sub_f32_e32 v244, v139, v151
	s_delay_alu instid0(VALU_DEP_2) | instskip(SKIP_2) | instid1(VALU_DEP_2)
	v_fma_f32 v136, v114, v100, -v112
	v_mul_f32_e32 v112, v131, v85
	v_sub_f32_e32 v156, v125, v119
	v_fma_f32 v122, v130, v84, -v112
	v_mul_f32_e32 v112, v135, v109
	s_delay_alu instid0(VALU_DEP_2) | instskip(SKIP_1) | instid1(VALU_DEP_3)
	v_dual_sub_f32 v247, v143, v140 :: v_dual_sub_f32 v130, v122, v118
	v_fmac_f32_e32 v145, v113, v96
	v_fma_f32 v123, v134, v108, -v112
	v_fmac_f32_e32 v137, v115, v100
	ds_load_2addr_b64 v[112:115], v227 offset1:55
	v_sub_f32_e32 v135, v118, v122
	v_dual_add_f32 v152, v122, v121 :: v_dual_sub_f32 v153, v121, v123
	v_add_f32_e32 v131, v118, v123
	v_dual_sub_f32 v134, v118, v123 :: v_dual_sub_f32 v155, v117, v125
	s_delay_alu instid0(VALU_DEP_3) | instskip(SKIP_2) | instid1(VALU_DEP_1)
	v_add_f32_e32 v130, v130, v153
	s_wait_dscnt 0x0
	v_dual_add_f32 v126, v112, v122 :: v_dual_sub_f32 v243, v138, v145
	v_dual_add_f32 v126, v126, v118 :: v_dual_add_f32 v127, v113, v125
	s_delay_alu instid0(VALU_DEP_1) | instskip(SKIP_1) | instid1(VALU_DEP_2)
	v_dual_add_f32 v118, v126, v123 :: v_dual_add_f32 v127, v127, v117
	v_sub_f32_e32 v123, v123, v121
	v_dual_add_f32 v126, v127, v124 :: v_dual_sub_f32 v127, v122, v121
	s_delay_alu instid0(VALU_DEP_3) | instskip(NEXT) | instid1(VALU_DEP_2)
	v_dual_add_f32 v121, v118, v121 :: v_dual_add_f32 v118, v117, v124
	v_dual_sub_f32 v157, v119, v124 :: v_dual_add_f32 v122, v126, v119
	v_sub_f32_e32 v126, v125, v117
	v_add_f32_e32 v125, v125, v119
	s_delay_alu instid0(VALU_DEP_4)
	v_fma_f32 v118, -0.5, v118, v113
	v_fma_f32 v117, -0.5, v131, v112
	;; [unrolled: 1-line block ×3, first 2 shown]
	v_sub_f32_e32 v119, v124, v119
	v_fma_f32 v113, -0.5, v125, v113
	v_fmamk_f32 v124, v127, 0xbf737871, v118
	v_fmac_f32_e32 v118, 0x3f737871, v127
	v_fmamk_f32 v125, v154, 0xbf737871, v112
	v_fmac_f32_e32 v112, 0x3f737871, v154
	s_delay_alu instid0(VALU_DEP_4) | instskip(NEXT) | instid1(VALU_DEP_4)
	v_dual_fmac_f32 v124, 0xbf167918, v134 :: v_dual_add_f32 v119, v155, v119
	v_dual_fmac_f32 v118, 0x3f167918, v134 :: v_dual_add_f32 v131, v126, v157
	v_dual_fmamk_f32 v126, v134, 0x3f737871, v113 :: v_dual_add_f32 v135, v135, v123
	s_delay_alu instid0(VALU_DEP_4)
	v_fmac_f32_e32 v112, 0xbf167918, v156
	v_fmamk_f32 v123, v156, 0x3f737871, v117
	v_fmac_f32_e32 v113, 0xbf737871, v134
	v_fmac_f32_e32 v117, 0xbf737871, v156
	;; [unrolled: 1-line block ×8, first 2 shown]
	s_delay_alu instid0(VALU_DEP_4) | instskip(SKIP_1) | instid1(VALU_DEP_4)
	v_dual_fmac_f32 v126, 0x3e9e377a, v119 :: v_dual_fmac_f32 v123, 0x3e9e377a, v130
	v_fmac_f32_e32 v124, 0x3e9e377a, v131
	v_dual_fmac_f32 v112, 0x3e9e377a, v135 :: v_dual_fmac_f32 v117, 0x3e9e377a, v130
	v_fmac_f32_e32 v113, 0x3e9e377a, v119
	v_fmac_f32_e32 v118, 0x3e9e377a, v131
	ds_store_b64 v227, v[123:124] offset:2200
	ds_store_b64 v227, v[125:126] offset:4400
	;; [unrolled: 1-line block ×4, first 2 shown]
	v_dual_add_f32 v112, v114, v144 :: v_dual_add_f32 v113, v115, v143
	ds_load_b64 v[130:131], v227 offset:10560
	ds_load_2addr_b64 v[152:155], v227 offset0:110 offset1:165
	ds_load_2addr_b64 v[156:159], v147 offset0:148 offset1:203
	ds_load_2addr_b64 v[160:163], v146 offset0:186 offset1:241
	ds_load_2addr_b64 v[164:167], v150 offset0:184 offset1:239
	ds_load_2addr_b64 v[168:171], v149 offset0:94 offset1:149
	v_dual_add_f32 v112, v112, v139 :: v_dual_add_f32 v113, v113, v138
	s_delay_alu instid0(VALU_DEP_1) | instskip(NEXT) | instid1(VALU_DEP_1)
	v_dual_add_f32 v112, v112, v151 :: v_dual_add_f32 v113, v113, v145
	v_dual_add_f32 v112, v112, v141 :: v_dual_add_f32 v113, v113, v140
	s_wait_dscnt 0x3
	v_mul_f32_e32 v241, v156, v107
	ds_store_2addr_b64 v227, v[121:122], v[112:113] offset1:55
	v_dual_add_f32 v112, v139, v151 :: v_dual_add_f32 v113, v144, v141
	s_delay_alu instid0(VALU_DEP_1) | instskip(NEXT) | instid1(VALU_DEP_2)
	v_fma_f32 v134, -0.5, v112, v114
	v_fma_f32 v114, -0.5, v113, v114
	v_sub_f32_e32 v112, v139, v144
	v_sub_f32_e32 v113, v151, v141
	s_delay_alu instid0(VALU_DEP_1) | instskip(SKIP_1) | instid1(VALU_DEP_1)
	v_add_f32_e32 v172, v112, v113
	v_dual_add_f32 v112, v138, v145 :: v_dual_sub_f32 v113, v145, v140
	v_fma_f32 v135, -0.5, v112, v115
	v_add_f32_e32 v112, v143, v140
	s_delay_alu instid0(VALU_DEP_1) | instskip(NEXT) | instid1(VALU_DEP_1)
	v_dual_fmac_f32 v115, -0.5, v112 :: v_dual_sub_f32 v112, v138, v143
	v_dual_sub_f32 v138, v143, v138 :: v_dual_add_f32 v173, v112, v113
	v_mul_f32_e32 v112, v157, v107
	s_delay_alu instid0(VALU_DEP_1) | instskip(SKIP_2) | instid1(VALU_DEP_2)
	v_fma_f32 v174, v156, v106, -v112
	s_wait_dscnt 0x3
	v_mul_f32_e32 v112, v161, v103
	v_dual_fmac_f32 v241, v157, v106 :: v_dual_sub_f32 v246, v174, v136
	s_delay_alu instid0(VALU_DEP_2) | instskip(SKIP_1) | instid1(VALU_DEP_2)
	v_fma_f32 v175, v160, v102, -v112
	v_sub_f32_e32 v112, v174, v17
	v_sub_f32_e32 v250, v17, v175
	v_fmamk_f32 v156, v243, 0xbf737871, v114
	v_dual_fmac_f32 v114, 0x3f737871, v243 :: v_dual_sub_f32 v117, v241, v16
	s_delay_alu instid0(VALU_DEP_1) | instskip(SKIP_1) | instid1(VALU_DEP_2)
	v_fmac_f32_e32 v114, 0xbf167918, v247
	v_mul_f32_e32 v177, v160, v103
	v_dual_sub_f32 v245, v241, v137 :: v_dual_fmac_f32 v114, 0x3e9e377a, v172
	s_delay_alu instid0(VALU_DEP_2) | instskip(NEXT) | instid1(VALU_DEP_1)
	v_fmac_f32_e32 v177, v161, v102
	v_dual_sub_f32 v113, v136, v175 :: v_dual_sub_f32 v118, v137, v177
	s_delay_alu instid0(VALU_DEP_1) | instskip(SKIP_2) | instid1(VALU_DEP_4)
	v_add_f32_e32 v176, v112, v113
	v_dual_add_f32 v112, v17, v175 :: v_dual_fmamk_f32 v157, v244, 0x3f737871, v115
	v_fmac_f32_e32 v115, 0xbf737871, v244
	v_dual_sub_f32 v249, v16, v177 :: v_dual_add_f32 v242, v117, v118
	s_delay_alu instid0(VALU_DEP_3) | instskip(SKIP_1) | instid1(VALU_DEP_4)
	v_fma_f32 v112, -0.5, v112, v152
	v_add_f32_e32 v113, v16, v177
	v_fmac_f32_e32 v115, 0x3f167918, v248
	s_delay_alu instid0(VALU_DEP_3) | instskip(NEXT) | instid1(VALU_DEP_3)
	v_fmamk_f32 v160, v245, 0xbf737871, v112
	v_fma_f32 v113, -0.5, v113, v153
	v_fmac_f32_e32 v112, 0x3f737871, v245
	s_delay_alu instid0(VALU_DEP_4) | instskip(NEXT) | instid1(VALU_DEP_3)
	v_fmac_f32_e32 v115, 0x3e9e377a, v173
	v_fmamk_f32 v161, v246, 0x3f737871, v113
	v_fmac_f32_e32 v113, 0xbf737871, v246
	s_delay_alu instid0(VALU_DEP_4) | instskip(NEXT) | instid1(VALU_DEP_2)
	v_fmac_f32_e32 v112, 0xbf167918, v249
	v_dual_fmac_f32 v156, 0x3f167918, v247 :: v_dual_fmac_f32 v113, 0x3f167918, v250
	s_delay_alu instid0(VALU_DEP_1)
	v_dual_fmac_f32 v112, 0x3e9e377a, v176 :: v_dual_fmac_f32 v113, 0x3e9e377a, v242
	ds_store_2addr_b64 v148, v[114:115], v[112:113] offset0:112 offset1:167
	v_lshlrev_b32_e32 v112, 5, v116
	s_clause 0x1
	global_load_b128 v[124:127], v112, s[0:1] offset:2112
	global_load_b128 v[116:119], v112, s[0:1] offset:2128
	v_fmac_f32_e32 v157, 0xbf167918, v248
	s_wait_loadcnt 0x1
	s_delay_alu instid0(VALU_DEP_1) | instskip(SKIP_2) | instid1(VALU_DEP_2)
	v_dual_fmac_f32 v157, 0x3e9e377a, v173 :: v_dual_mul_f32 v112, v159, v127
	s_wait_dscnt 0x3
	v_mul_f32_e32 v113, v165, v125
	v_fma_f32 v251, v158, v126, -v112
	v_mul_f32_e32 v158, v158, v127
	s_wait_loadcnt 0x0
	v_mul_f32_e32 v112, v163, v119
	s_delay_alu instid0(VALU_DEP_2) | instskip(NEXT) | instid1(VALU_DEP_2)
	v_fmac_f32_e32 v158, v159, v126
	v_fma_f32 v159, v162, v118, -v112
	v_lshlrev_b32_e32 v112, 5, v120
	v_mul_f32_e32 v162, v162, v119
	s_delay_alu instid0(VALU_DEP_1)
	v_fmac_f32_e32 v162, v163, v118
	v_fma_f32 v163, v164, v124, -v113
	s_clause 0x1
	global_load_b128 v[120:123], v112, s[0:1] offset:2112
	global_load_b128 v[112:115], v112, s[0:1] offset:2128
	v_mul_f32_e32 v164, v164, v125
	s_add_nc_u64 s[0:1], s[12:13], 0x2af8
	s_wait_loadcnt 0x1
	s_delay_alu instid0(VALU_DEP_1) | instskip(SKIP_1) | instid1(VALU_DEP_2)
	v_dual_fmac_f32 v164, v165, v124 :: v_dual_mul_f32 v165, v167, v121
	v_mul_f32_e32 v252, v132, v123
	v_fma_f32 v165, v166, v120, -v165
	v_mul_f32_e32 v166, v166, v121
	s_delay_alu instid0(VALU_DEP_1) | instskip(NEXT) | instid1(VALU_DEP_1)
	v_dual_fmac_f32 v166, v167, v120 :: v_dual_mul_f32 v167, v133, v123
	v_fma_f32 v167, v132, v122, -v167
	s_wait_dscnt 0x2
	v_mul_f32_e32 v132, v169, v117
	s_delay_alu instid0(VALU_DEP_1) | instskip(SKIP_3) | instid1(VALU_DEP_2)
	v_fma_f32 v253, v168, v116, -v132
	v_mul_f32_e32 v168, v168, v117
	s_wait_loadcnt 0x0
	v_mul_f32_e32 v132, v171, v113
	v_fmac_f32_e32 v168, v169, v116
	s_delay_alu instid0(VALU_DEP_2) | instskip(SKIP_2) | instid1(VALU_DEP_1)
	v_fma_f32 v169, v170, v112, -v132
	v_sub_f32_e32 v132, v144, v139
	v_sub_f32_e32 v139, v140, v145
	v_add_f32_e32 v144, v138, v139
	v_sub_f32_e32 v138, v16, v241
	v_sub_f32_e32 v139, v177, v137
	v_fmac_f32_e32 v252, v133, v122
	v_sub_f32_e32 v133, v141, v151
	s_delay_alu instid0(VALU_DEP_3) | instskip(SKIP_1) | instid1(VALU_DEP_3)
	v_dual_add_f32 v16, v153, v16 :: v_dual_add_f32 v151, v138, v139
	v_dual_fmamk_f32 v139, v248, 0xbf737871, v135 :: v_dual_mul_f32 v170, v170, v113
	v_dual_add_f32 v143, v132, v133 :: v_dual_sub_f32 v132, v17, v174
	v_sub_f32_e32 v133, v175, v136
	s_delay_alu instid0(VALU_DEP_3) | instskip(NEXT) | instid1(VALU_DEP_4)
	v_fmac_f32_e32 v139, 0xbf167918, v244
	v_fmac_f32_e32 v170, v171, v112
	v_dual_fmamk_f32 v138, v247, 0x3f737871, v134 :: v_dual_fmac_f32 v135, 0x3f737871, v248
	s_delay_alu instid0(VALU_DEP_4) | instskip(SKIP_1) | instid1(VALU_DEP_3)
	v_dual_add_f32 v145, v132, v133 :: v_dual_add_f32 v132, v174, v136
	v_add_f32_e32 v133, v241, v137
	v_dual_add_f32 v17, v152, v17 :: v_dual_fmac_f32 v138, 0x3f167918, v243
	s_delay_alu instid0(VALU_DEP_4) | instskip(NEXT) | instid1(VALU_DEP_4)
	v_fmac_f32_e32 v135, 0x3f167918, v244
	v_fma_f32 v132, -0.5, v132, v152
	s_delay_alu instid0(VALU_DEP_4) | instskip(NEXT) | instid1(VALU_DEP_4)
	v_fma_f32 v133, -0.5, v133, v153
	v_dual_fmac_f32 v160, 0x3f167918, v249 :: v_dual_add_f32 v17, v17, v174
	v_fmac_f32_e32 v134, 0xbf737871, v247
	s_delay_alu instid0(VALU_DEP_4) | instskip(NEXT) | instid1(VALU_DEP_4)
	v_fmamk_f32 v140, v249, 0x3f737871, v132
	v_fmamk_f32 v141, v250, 0xbf737871, v133
	v_fmac_f32_e32 v133, 0x3f737871, v250
	v_dual_fmac_f32 v132, 0xbf737871, v249 :: v_dual_add_f32 v17, v17, v136
	s_delay_alu instid0(VALU_DEP_4) | instskip(NEXT) | instid1(VALU_DEP_4)
	v_fmac_f32_e32 v140, 0x3f167918, v245
	v_fmac_f32_e32 v141, 0xbf167918, v246
	s_delay_alu instid0(VALU_DEP_4)
	v_fmac_f32_e32 v133, 0x3f167918, v246
	v_fmac_f32_e32 v139, 0x3e9e377a, v144
	v_dual_fmac_f32 v161, 0xbf167918, v250 :: v_dual_fmac_f32 v134, 0xbf167918, v243
	v_fmac_f32_e32 v138, 0x3e9e377a, v143
	v_dual_fmac_f32 v140, 0x3e9e377a, v145 :: v_dual_fmac_f32 v135, 0x3e9e377a, v144
	v_fmac_f32_e32 v141, 0x3e9e377a, v151
	v_fmac_f32_e32 v132, 0xbf167918, v245
	v_dual_fmac_f32 v156, 0x3e9e377a, v172 :: v_dual_fmac_f32 v133, 0x3e9e377a, v151
	v_fmac_f32_e32 v161, 0x3e9e377a, v242
	ds_store_2addr_b64 v150, v[138:139], v[140:141] offset0:74 offset1:129
	v_fmac_f32_e32 v134, 0x3e9e377a, v143
	v_dual_fmac_f32 v132, 0x3e9e377a, v145 :: v_dual_mul_f32 v139, v130, v115
	v_add_f32_e32 v16, v16, v241
	v_sub_f32_e32 v145, v164, v162
	v_sub_f32_e32 v151, v158, v168
	ds_store_2addr_b64 v146, v[134:135], v[132:133] offset0:131 offset1:186
	v_dual_fmac_f32 v139, v131, v114 :: v_dual_add_f32 v132, v16, v137
	v_fmac_f32_e32 v160, 0x3e9e377a, v176
	v_dual_add_f32 v16, v17, v175 :: v_dual_add_f32 v133, v155, v164
	v_sub_f32_e32 v153, v251, v253
	s_delay_alu instid0(VALU_DEP_4) | instskip(SKIP_4) | instid1(VALU_DEP_3)
	v_dual_add_f32 v17, v132, v177 :: v_dual_add_f32 v132, v154, v163
	ds_store_2addr_b64 v147, v[156:157], v[160:161] offset0:93 offset1:148
	v_add_f32_e32 v133, v133, v158
	v_sub_f32_e32 v157, v252, v170
	v_dual_sub_f32 v161, v167, v169 :: v_dual_add_f32 v132, v132, v251
	v_dual_add_f32 v136, v164, v162 :: v_dual_add_f32 v133, v133, v168
	v_sub_f32_e32 v137, v168, v162
	s_delay_alu instid0(VALU_DEP_2) | instskip(NEXT) | instid1(VALU_DEP_1)
	v_dual_add_f32 v132, v132, v253 :: v_dual_add_f32 v133, v133, v162
	v_add_f32_e32 v132, v132, v159
	ds_store_2addr_b64 v227, v[16:17], v[132:133] offset0:110 offset1:165
	v_mul_f32_e32 v16, v131, v115
	v_sub_f32_e32 v17, v159, v253
	v_sub_f32_e32 v131, v139, v170
	s_delay_alu instid0(VALU_DEP_3) | instskip(SKIP_1) | instid1(VALU_DEP_2)
	v_fma_f32 v138, v130, v114, -v16
	v_sub_f32_e32 v16, v163, v251
	v_sub_f32_e32 v130, v138, v169
	s_delay_alu instid0(VALU_DEP_2) | instskip(SKIP_2) | instid1(VALU_DEP_2)
	v_add_f32_e32 v140, v16, v17
	v_dual_add_f32 v16, v251, v253 :: v_dual_add_f32 v17, v158, v168
	v_sub_f32_e32 v160, v165, v138
	v_fma_f32 v134, -0.5, v16, v154
	s_delay_alu instid0(VALU_DEP_3) | instskip(SKIP_2) | instid1(VALU_DEP_2)
	v_fma_f32 v135, -0.5, v17, v155
	v_dual_sub_f32 v16, v164, v158 :: v_dual_sub_f32 v17, v162, v168
	v_fmac_f32_e32 v155, -0.5, v136
	v_add_f32_e32 v141, v16, v17
	v_sub_f32_e32 v17, v165, v167
	s_delay_alu instid0(VALU_DEP_1) | instskip(SKIP_1) | instid1(VALU_DEP_1)
	v_add_f32_e32 v143, v17, v130
	v_dual_add_f32 v17, v252, v170 :: v_dual_sub_f32 v130, v166, v252
	v_fma_f32 v17, -0.5, v17, v129
	s_delay_alu instid0(VALU_DEP_2) | instskip(SKIP_1) | instid1(VALU_DEP_3)
	v_add_f32_e32 v144, v130, v131
	v_fmamk_f32 v130, v145, 0x3f737871, v134
	v_dual_fmac_f32 v134, 0xbf737871, v145 :: v_dual_fmamk_f32 v133, v160, 0xbf737871, v17
	v_sub_f32_e32 v152, v163, v159
	s_delay_alu instid0(VALU_DEP_3) | instskip(NEXT) | instid1(VALU_DEP_3)
	v_fmac_f32_e32 v130, 0x3f167918, v151
	v_dual_fmac_f32 v134, 0xbf167918, v151 :: v_dual_fmac_f32 v133, 0xbf167918, v161
	s_delay_alu instid0(VALU_DEP_3) | instskip(NEXT) | instid1(VALU_DEP_3)
	v_dual_add_f32 v16, v167, v169 :: v_dual_fmamk_f32 v131, v152, 0xbf737871, v135
	v_fmac_f32_e32 v130, 0x3e9e377a, v140
	v_fmac_f32_e32 v135, 0x3f737871, v152
	s_delay_alu instid0(VALU_DEP_4) | instskip(NEXT) | instid1(VALU_DEP_4)
	v_fmac_f32_e32 v133, 0x3e9e377a, v144
	v_fma_f32 v16, -0.5, v16, v128
	v_dual_fmac_f32 v131, 0xbf167918, v153 :: v_dual_sub_f32 v156, v166, v139
	v_fmac_f32_e32 v17, 0x3f737871, v160
	v_fmac_f32_e32 v135, 0x3f167918, v153
	s_delay_alu instid0(VALU_DEP_3) | instskip(NEXT) | instid1(VALU_DEP_4)
	v_dual_fmac_f32 v134, 0x3e9e377a, v140 :: v_dual_fmac_f32 v131, 0x3e9e377a, v141
	v_fmamk_f32 v132, v156, 0x3f737871, v16
	v_fmac_f32_e32 v16, 0xbf737871, v156
	v_fmac_f32_e32 v17, 0x3f167918, v161
	v_fmac_f32_e32 v135, 0x3e9e377a, v141
	s_delay_alu instid0(VALU_DEP_4) | instskip(NEXT) | instid1(VALU_DEP_4)
	v_fmac_f32_e32 v132, 0x3f167918, v157
	v_fmac_f32_e32 v16, 0xbf167918, v157
	s_delay_alu instid0(VALU_DEP_2) | instskip(NEXT) | instid1(VALU_DEP_2)
	v_dual_fmac_f32 v17, 0x3e9e377a, v144 :: v_dual_fmac_f32 v132, 0x3e9e377a, v143
	v_fmac_f32_e32 v16, 0x3e9e377a, v143
	ds_store_2addr_b64 v150, v[130:131], v[132:133] offset0:184 offset1:239
	v_sub_f32_e32 v130, v251, v163
	v_add_f32_e32 v131, v163, v159
	v_dual_sub_f32 v132, v253, v159 :: v_dual_sub_f32 v133, v158, v164
	s_delay_alu instid0(VALU_DEP_2) | instskip(NEXT) | instid1(VALU_DEP_2)
	v_fma_f32 v154, -0.5, v131, v154
	v_dual_sub_f32 v131, v169, v138 :: v_dual_add_f32 v158, v130, v132
	v_add_f32_e32 v130, v165, v138
	s_delay_alu instid0(VALU_DEP_4)
	v_add_f32_e32 v159, v133, v137
	v_dual_add_f32 v132, v128, v165 :: v_dual_add_f32 v133, v129, v166
	v_fmamk_f32 v136, v151, 0xbf737871, v154
	v_dual_fmac_f32 v154, 0x3f737871, v151 :: v_dual_fmamk_f32 v137, v153, 0x3f737871, v155
	v_fmac_f32_e32 v155, 0xbf737871, v153
	v_fma_f32 v128, -0.5, v130, v128
	v_dual_sub_f32 v130, v167, v165 :: v_dual_add_f32 v133, v133, v252
	s_delay_alu instid0(VALU_DEP_4) | instskip(NEXT) | instid1(VALU_DEP_4)
	v_fmac_f32_e32 v137, 0xbf167918, v152
	v_dual_fmac_f32 v155, 0x3f167918, v152 :: v_dual_fmac_f32 v136, 0x3f167918, v145
	s_delay_alu instid0(VALU_DEP_3) | instskip(SKIP_4) | instid1(VALU_DEP_4)
	v_add_f32_e32 v162, v130, v131
	v_add_f32_e32 v130, v166, v139
	v_sub_f32_e32 v131, v170, v139
	v_dual_add_f32 v133, v133, v170 :: v_dual_fmac_f32 v154, 0xbf167918, v145
	v_fmac_f32_e32 v137, 0x3e9e377a, v159
	v_fmac_f32_e32 v129, -0.5, v130
	s_delay_alu instid0(VALU_DEP_3) | instskip(NEXT) | instid1(VALU_DEP_4)
	v_dual_sub_f32 v130, v252, v166 :: v_dual_add_f32 v133, v133, v139
	v_dual_fmac_f32 v154, 0x3e9e377a, v158 :: v_dual_fmac_f32 v155, 0x3e9e377a, v159
	s_delay_alu instid0(VALU_DEP_2) | instskip(SKIP_4) | instid1(VALU_DEP_4)
	v_add_f32_e32 v163, v130, v131
	v_add_f32_e32 v132, v132, v167
	v_fmamk_f32 v130, v157, 0xbf737871, v128
	v_dual_fmac_f32 v128, 0x3f737871, v157 :: v_dual_fmamk_f32 v131, v161, 0x3f737871, v129
	v_fmac_f32_e32 v129, 0xbf737871, v161
	v_add_f32_e32 v132, v132, v169
	s_delay_alu instid0(VALU_DEP_4) | instskip(NEXT) | instid1(VALU_DEP_4)
	v_fmac_f32_e32 v130, 0x3f167918, v156
	v_fmac_f32_e32 v128, 0xbf167918, v156
	;; [unrolled: 1-line block ×3, first 2 shown]
	s_delay_alu instid0(VALU_DEP_4) | instskip(SKIP_1) | instid1(VALU_DEP_4)
	v_dual_fmac_f32 v129, 0x3f167918, v160 :: v_dual_add_f32 v132, v132, v138
	v_fmac_f32_e32 v136, 0x3e9e377a, v158
	v_fmac_f32_e32 v128, 0x3e9e377a, v162
	s_delay_alu instid0(VALU_DEP_3)
	v_dual_fmac_f32 v130, 0x3e9e377a, v162 :: v_dual_fmac_f32 v129, 0x3e9e377a, v163
	ds_store_b64 v227, v[132:133] offset:1760
	v_fmac_f32_e32 v131, 0x3e9e377a, v163
	v_add_nc_u32_e32 v132, 0x1400, v227
	v_add_nc_u32_e32 v133, 0x2400, v227
	ds_store_2addr_b64 v149, v[154:155], v[128:129] offset0:94 offset1:149
	ds_store_2addr_b64 v132, v[136:137], v[130:131] offset0:75 offset1:130
	;; [unrolled: 1-line block ×3, first 2 shown]
	global_wb scope:SCOPE_SE
	s_wait_dscnt 0x0
	s_barrier_signal -1
	s_barrier_wait -1
	global_inv scope:SCOPE_SE
	s_clause 0x3
	global_load_b64 v[138:139], v[178:179], off offset:11000
	global_load_b64 v[140:141], v227, s[0:1] offset:440
	global_load_b64 v[143:144], v227, s[0:1] offset:1000
	;; [unrolled: 1-line block ×3, first 2 shown]
	ds_load_2addr_b64 v[134:137], v227 offset1:55
	s_wait_loadcnt_dscnt 0x300
	v_mul_f32_e32 v145, v135, v139
	s_wait_loadcnt 0x2
	v_dual_mul_f32 v154, v134, v139 :: v_dual_mul_f32 v139, v136, v141
	s_delay_alu instid0(VALU_DEP_2) | instskip(SKIP_1) | instid1(VALU_DEP_3)
	v_fma_f32 v153, v134, v138, -v145
	v_mul_f32_e32 v134, v137, v141
	v_dual_fmac_f32 v154, v135, v138 :: v_dual_fmac_f32 v139, v137, v140
	s_delay_alu instid0(VALU_DEP_2)
	v_fma_f32 v138, v136, v140, -v134
	ds_store_b64 v227, v[153:154]
	ds_load_2addr_b64 v[134:137], v227 offset0:125 offset1:180
	s_wait_loadcnt_dscnt 0x100
	v_mul_f32_e32 v140, v135, v144
	v_mul_f32_e32 v141, v134, v144
	s_wait_loadcnt 0x0
	v_mul_f32_e32 v144, v136, v152
	s_delay_alu instid0(VALU_DEP_3) | instskip(NEXT) | instid1(VALU_DEP_3)
	v_fma_f32 v140, v134, v143, -v140
	v_dual_mul_f32 v134, v137, v152 :: v_dual_fmac_f32 v141, v135, v143
	s_delay_alu instid0(VALU_DEP_3) | instskip(NEXT) | instid1(VALU_DEP_2)
	v_fmac_f32_e32 v144, v137, v151
	v_fma_f32 v143, v136, v151, -v134
	s_clause 0x3
	global_load_b64 v[151:152], v227, s[0:1] offset:2000
	global_load_b64 v[153:154], v227, s[0:1] offset:2440
	global_load_b64 v[155:156], v227, s[0:1] offset:3000
	global_load_b64 v[157:158], v227, s[0:1] offset:3440
	ds_load_2addr_b64 v[134:137], v142 offset0:122 offset1:177
	s_wait_loadcnt_dscnt 0x300
	v_mul_f32_e32 v145, v135, v152
	v_mul_f32_e32 v160, v134, v152
	s_wait_loadcnt 0x2
	v_mul_f32_e32 v152, v136, v154
	s_delay_alu instid0(VALU_DEP_3) | instskip(SKIP_2) | instid1(VALU_DEP_4)
	v_fma_f32 v159, v134, v151, -v145
	v_mul_f32_e32 v134, v137, v154
	v_fmac_f32_e32 v160, v135, v151
	v_fmac_f32_e32 v152, v137, v153
	v_add_nc_u32_e32 v154, 0xc00, v227
	s_delay_alu instid0(VALU_DEP_4)
	v_fma_f32 v151, v136, v153, -v134
	ds_load_2addr_b64 v[134:137], v150 offset0:119 offset1:174
	s_wait_loadcnt_dscnt 0x100
	v_mul_f32_e32 v145, v135, v156
	v_mul_f32_e32 v162, v134, v156
	s_wait_loadcnt 0x0
	v_mul_f32_e32 v156, v136, v158
	s_delay_alu instid0(VALU_DEP_3) | instskip(SKIP_2) | instid1(VALU_DEP_4)
	v_fma_f32 v161, v134, v155, -v145
	v_mul_f32_e32 v134, v137, v158
	v_fmac_f32_e32 v162, v135, v155
	v_fmac_f32_e32 v156, v137, v157
	s_delay_alu instid0(VALU_DEP_3)
	v_fma_f32 v155, v136, v157, -v134
	s_clause 0x3
	global_load_b64 v[157:158], v227, s[0:1] offset:4000
	global_load_b64 v[163:164], v227, s[0:1] offset:4440
	global_load_b64 v[165:166], v227, s[0:1] offset:5000
	global_load_b64 v[167:168], v227, s[0:1] offset:5440
	ds_load_2addr_b64 v[134:137], v154 offset0:116 offset1:171
	s_wait_loadcnt_dscnt 0x300
	v_mul_f32_e32 v145, v135, v158
	v_mul_f32_e32 v170, v134, v158
	s_wait_loadcnt 0x2
	v_mul_f32_e32 v158, v136, v164
	s_delay_alu instid0(VALU_DEP_3) | instskip(SKIP_2) | instid1(VALU_DEP_4)
	v_fma_f32 v169, v134, v157, -v145
	v_mul_f32_e32 v134, v137, v164
	v_fmac_f32_e32 v170, v135, v157
	v_fmac_f32_e32 v158, v137, v163
	s_delay_alu instid0(VALU_DEP_3)
	v_fma_f32 v157, v136, v163, -v134
	ds_load_2addr_b64 v[134:137], v147 offset0:113 offset1:168
	s_wait_loadcnt_dscnt 0x100
	v_mul_f32_e32 v145, v135, v166
	v_mul_f32_e32 v164, v134, v166
	s_wait_loadcnt 0x0
	v_mul_f32_e32 v166, v136, v168
	s_delay_alu instid0(VALU_DEP_3) | instskip(SKIP_2) | instid1(VALU_DEP_4)
	v_fma_f32 v163, v134, v165, -v145
	v_mul_f32_e32 v134, v137, v168
	v_fmac_f32_e32 v164, v135, v165
	v_fmac_f32_e32 v166, v137, v167
	s_delay_alu instid0(VALU_DEP_3)
	v_fma_f32 v165, v136, v167, -v134
	s_clause 0x3
	global_load_b64 v[167:168], v227, s[0:1] offset:6000
	global_load_b64 v[171:172], v227, s[0:1] offset:6440
	global_load_b64 v[173:174], v227, s[0:1] offset:7000
	global_load_b64 v[175:176], v227, s[0:1] offset:7440
	ds_load_2addr_b64 v[134:137], v132 offset0:110 offset1:165
	s_wait_loadcnt_dscnt 0x300
	v_mul_f32_e32 v145, v135, v168
	v_mul_f32_e32 v242, v134, v168
	s_wait_loadcnt 0x2
	v_mul_f32_e32 v168, v136, v172
	s_delay_alu instid0(VALU_DEP_3) | instskip(SKIP_2) | instid1(VALU_DEP_4)
	v_fma_f32 v241, v134, v167, -v145
	v_mul_f32_e32 v134, v137, v172
	v_fmac_f32_e32 v242, v135, v167
	v_fmac_f32_e32 v168, v137, v171
	s_delay_alu instid0(VALU_DEP_3)
	;; [unrolled: 31-line block ×3, first 2 shown]
	v_fma_f32 v175, v136, v243, -v134
	ds_load_2addr_b64 v[134:137], v146 offset0:101 offset1:156
	s_wait_loadcnt_dscnt 0x100
	v_mul_f32_e32 v145, v135, v246
	v_mul_f32_e32 v244, v134, v246
	s_wait_loadcnt 0x0
	v_mul_f32_e32 v246, v136, v248
	s_delay_alu instid0(VALU_DEP_3) | instskip(SKIP_2) | instid1(VALU_DEP_4)
	v_fma_f32 v243, v134, v245, -v145
	v_mul_f32_e32 v134, v137, v248
	v_fmac_f32_e32 v244, v135, v245
	v_fmac_f32_e32 v246, v137, v247
	s_delay_alu instid0(VALU_DEP_3)
	v_fma_f32 v245, v136, v247, -v134
	s_clause 0x1
	global_load_b64 v[247:248], v227, s[0:1] offset:10000
	global_load_b64 v[251:252], v227, s[0:1] offset:10440
	ds_load_2addr_b64 v[134:137], v133 offset0:98 offset1:153
	s_wait_loadcnt_dscnt 0x100
	v_mul_f32_e32 v145, v135, v248
	v_mul_f32_e32 v254, v134, v248
	s_delay_alu instid0(VALU_DEP_2) | instskip(SKIP_1) | instid1(VALU_DEP_2)
	v_fma_f32 v253, v134, v247, -v145
	s_wait_loadcnt 0x0
	v_dual_fmac_f32 v254, v135, v247 :: v_dual_mul_f32 v135, v136, v252
	v_mul_f32_e32 v134, v137, v252
	s_delay_alu instid0(VALU_DEP_2) | instskip(NEXT) | instid1(VALU_DEP_2)
	v_fmac_f32_e32 v135, v137, v251
	v_fma_f32 v134, v136, v251, -v134
	ds_store_2addr_b64 v227, v[138:139], v[140:141] offset0:55 offset1:125
	ds_store_2addr_b64 v227, v[143:144], v[159:160] offset0:180 offset1:250
	;; [unrolled: 1-line block ×10, first 2 shown]
	ds_store_b64 v227, v[134:135] offset:10440
	s_and_saveexec_b32 s2, vcc_lo
	s_cbranch_execz .LBB0_9
; %bb.8:
	s_wait_alu 0xfffe
	v_add_co_u32 v134, s0, s0, v227
	s_wait_alu 0xf1ff
	v_add_co_ci_u32_e64 v135, null, s1, 0, s0
	s_clause 0xa
	global_load_b64 v[138:139], v[134:135], off offset:880
	global_load_b64 v[140:141], v[134:135], off offset:1880
	;; [unrolled: 1-line block ×11, first 2 shown]
	ds_load_2addr_b64 v[134:137], v227 offset0:110 offset1:235
	s_wait_loadcnt_dscnt 0xa00
	v_mul_f32_e32 v145, v135, v139
	s_wait_loadcnt 0x9
	v_dual_mul_f32 v156, v134, v139 :: v_dual_mul_f32 v153, v137, v141
	v_mul_f32_e32 v139, v136, v141
	s_delay_alu instid0(VALU_DEP_3) | instskip(NEXT) | instid1(VALU_DEP_3)
	v_fma_f32 v155, v134, v138, -v145
	v_fmac_f32_e32 v156, v135, v138
	s_delay_alu instid0(VALU_DEP_4) | instskip(NEXT) | instid1(VALU_DEP_4)
	v_fma_f32 v138, v136, v140, -v153
	v_fmac_f32_e32 v139, v137, v140
	ds_store_2addr_b64 v227, v[155:156], v[138:139] offset0:110 offset1:235
	ds_load_2addr_b64 v[134:137], v150 offset0:104 offset1:229
	ds_load_2addr_b64 v[138:141], v147 offset0:98 offset1:223
	;; [unrolled: 1-line block ×4, first 2 shown]
	ds_load_b64 v[241:242], v227 offset:10880
	s_wait_loadcnt_dscnt 0x704
	v_mul_f32_e32 v153, v136, v152
	s_wait_loadcnt_dscnt 0x503
	v_dual_mul_f32 v243, v135, v144 :: v_dual_mul_f32 v246, v141, v166
	v_mul_f32_e32 v145, v134, v144
	v_mul_f32_e32 v244, v137, v152
	s_wait_loadcnt_dscnt 0x101
	v_dual_mul_f32 v245, v139, v164 :: v_dual_mul_f32 v250, v162, v174
	v_dual_mul_f32 v177, v138, v164 :: v_dual_mul_f32 v164, v140, v166
	;; [unrolled: 1-line block ×3, first 2 shown]
	v_dual_mul_f32 v166, v155, v168 :: v_dual_fmac_f32 v153, v137, v151
	v_dual_mul_f32 v168, v157, v170 :: v_dual_mul_f32 v249, v160, v172
	v_mul_f32_e32 v170, v159, v172
	s_wait_loadcnt_dscnt 0x0
	v_dual_mul_f32 v172, v161, v174 :: v_dual_mul_f32 v251, v242, v176
	v_fmac_f32_e32 v166, v156, v167
	v_dual_mul_f32 v174, v241, v176 :: v_dual_fmac_f32 v145, v135, v143
	v_fma_f32 v144, v134, v143, -v243
	v_fma_f32 v152, v136, v151, -v244
	;; [unrolled: 1-line block ×3, first 2 shown]
	v_dual_fmac_f32 v177, v139, v163 :: v_dual_fmac_f32 v172, v162, v173
	v_fma_f32 v163, v140, v165, -v246
	v_fmac_f32_e32 v164, v141, v165
	v_fma_f32 v165, v155, v167, -v247
	v_fma_f32 v167, v157, v169, -v248
	v_fmac_f32_e32 v168, v158, v169
	v_fma_f32 v169, v159, v171, -v249
	v_fmac_f32_e32 v170, v160, v171
	v_fma_f32 v171, v161, v173, -v250
	v_fma_f32 v173, v241, v175, -v251
	v_fmac_f32_e32 v174, v242, v175
	ds_store_2addr_b64 v150, v[144:145], v[152:153] offset0:104 offset1:229
	ds_store_2addr_b64 v147, v[176:177], v[163:164] offset0:98 offset1:223
	;; [unrolled: 1-line block ×4, first 2 shown]
	ds_store_b64 v227, v[173:174] offset:10880
.LBB0_9:
	s_wait_alu 0xfffe
	s_or_b32 exec_lo, exec_lo, s2
	global_wb scope:SCOPE_SE
	s_wait_dscnt 0x0
	s_barrier_signal -1
	s_barrier_wait -1
	global_inv scope:SCOPE_SE
	ds_load_2addr_b64 v[134:137], v227 offset1:55
	ds_load_2addr_b64 v[138:141], v227 offset0:125 offset1:180
	ds_load_2addr_b64 v[142:145], v142 offset0:122 offset1:177
	ds_load_2addr_b64 v[150:153], v150 offset0:119 offset1:174
	ds_load_2addr_b64 v[162:165], v154 offset0:116 offset1:171
	ds_load_2addr_b64 v[174:177], v147 offset0:113 offset1:168
	ds_load_2addr_b64 v[170:173], v132 offset0:110 offset1:165
	ds_load_2addr_b64 v[166:169], v148 offset0:107 offset1:162
	ds_load_2addr_b64 v[158:161], v149 offset0:104 offset1:159
	ds_load_2addr_b64 v[154:157], v146 offset0:101 offset1:156
	ds_load_2addr_b64 v[146:149], v133 offset0:98 offset1:153
	s_and_saveexec_b32 s0, vcc_lo
	s_cbranch_execz .LBB0_11
; %bb.10:
	ds_load_2addr_b64 v[130:133], v227 offset0:110 offset1:235
	v_add_nc_u32_e32 v12, 0x800, v227
	v_add_nc_u32_e32 v13, 0x1000, v227
	;; [unrolled: 1-line block ×3, first 2 shown]
	s_wait_dscnt 0x0
	v_dual_mov_b32 v128, v132 :: v_dual_add_nc_u32 v15, 0x2000, v227
	v_mov_b32_e32 v129, v133
	ds_load_2addr_b64 v[16:19], v12 offset0:104 offset1:229
	ds_load_2addr_b64 v[24:27], v13 offset0:98 offset1:223
	;; [unrolled: 1-line block ×3, first 2 shown]
	ds_load_b64 v[225:226], v227 offset:10880
	ds_load_2addr_b64 v[12:15], v15 offset0:86 offset1:211
.LBB0_11:
	s_wait_alu 0xfffe
	s_or_b32 exec_lo, exec_lo, s0
	s_wait_dscnt 0x9
	v_dual_add_f32 v132, v134, v138 :: v_dual_add_f32 v133, v135, v139
	v_dual_add_f32 v241, v136, v140 :: v_dual_add_f32 v242, v137, v141
	s_wait_dscnt 0x4
	v_dual_sub_f32 v243, v177, v173 :: v_dual_add_f32 v244, v172, v176
	s_delay_alu instid0(VALU_DEP_3) | instskip(NEXT) | instid1(VALU_DEP_3)
	v_dual_add_f32 v132, v132, v142 :: v_dual_add_f32 v133, v133, v143
	v_dual_add_f32 v241, v241, v144 :: v_dual_add_f32 v242, v242, v145
	s_wait_dscnt 0x3
	v_sub_f32_e32 v247, v162, v166
	s_delay_alu instid0(VALU_DEP_3) | instskip(NEXT) | instid1(VALU_DEP_3)
	v_dual_add_f32 v132, v132, v150 :: v_dual_add_f32 v133, v133, v151
	v_dual_add_f32 v241, v241, v152 :: v_dual_add_f32 v242, v242, v153
	global_wb scope:SCOPE_SE
	s_wait_dscnt 0x0
	v_dual_add_f32 v132, v132, v162 :: v_dual_add_f32 v133, v133, v163
	v_dual_add_f32 v241, v241, v164 :: v_dual_add_f32 v242, v242, v165
	s_barrier_signal -1
	s_delay_alu instid0(VALU_DEP_2) | instskip(NEXT) | instid1(VALU_DEP_2)
	v_dual_add_f32 v132, v132, v174 :: v_dual_add_f32 v133, v133, v175
	v_dual_add_f32 v245, v241, v176 :: v_dual_add_f32 v246, v242, v177
	v_dual_sub_f32 v242, v175, v171 :: v_dual_add_f32 v241, v170, v174
	v_dual_add_f32 v175, v171, v175 :: v_dual_sub_f32 v174, v174, v170
	v_dual_add_f32 v177, v173, v177 :: v_dual_sub_f32 v176, v176, v172
	v_dual_add_f32 v132, v132, v170 :: v_dual_add_f32 v133, v133, v171
	v_dual_add_f32 v171, v245, v172 :: v_dual_add_f32 v172, v246, v173
	v_dual_sub_f32 v173, v163, v167 :: v_dual_sub_f32 v170, v165, v169
	v_dual_add_f32 v245, v166, v162 :: v_dual_add_f32 v246, v167, v163
	s_delay_alu instid0(VALU_DEP_4) | instskip(NEXT) | instid1(VALU_DEP_4)
	v_dual_add_f32 v165, v169, v165 :: v_dual_add_f32 v132, v132, v166
	v_dual_add_f32 v133, v133, v167 :: v_dual_add_f32 v166, v171, v168
	v_dual_add_f32 v167, v172, v169 :: v_dual_sub_f32 v172, v150, v158
	v_add_f32_e32 v163, v168, v164
	v_sub_f32_e32 v162, v164, v168
	v_sub_f32_e32 v168, v151, v159
	v_dual_add_f32 v169, v159, v151 :: v_dual_sub_f32 v164, v153, v161
	v_dual_add_f32 v171, v158, v150 :: v_dual_sub_f32 v150, v152, v160
	v_dual_add_f32 v153, v161, v153 :: v_dual_add_f32 v132, v132, v158
	v_dual_add_f32 v133, v133, v159 :: v_dual_add_f32 v158, v166, v160
	v_add_f32_e32 v159, v167, v161
	v_dual_add_f32 v151, v160, v152 :: v_dual_sub_f32 v160, v143, v155
	v_dual_add_f32 v161, v154, v142 :: v_dual_add_f32 v166, v155, v143
	v_dual_sub_f32 v167, v142, v154 :: v_dual_sub_f32 v152, v145, v157
	v_dual_add_f32 v142, v157, v145 :: v_dual_add_f32 v145, v156, v144
	v_sub_f32_e32 v143, v144, v156
	v_add_f32_e32 v132, v132, v154
	v_dual_add_f32 v154, v159, v157 :: v_dual_add_f32 v133, v133, v155
	v_add_f32_e32 v144, v158, v156
	v_dual_add_f32 v155, v146, v138 :: v_dual_sub_f32 v156, v139, v147
	v_dual_add_f32 v157, v147, v139 :: v_dual_sub_f32 v158, v138, v146
	v_dual_sub_f32 v159, v141, v149 :: v_dual_add_f32 v248, v148, v140
	v_dual_add_f32 v141, v149, v141 :: v_dual_sub_f32 v140, v140, v148
	v_dual_add_f32 v138, v132, v146 :: v_dual_add_f32 v139, v133, v147
	v_dual_add_f32 v132, v144, v148 :: v_dual_add_f32 v133, v154, v149
	s_delay_alu instid0(VALU_DEP_4) | instskip(SKIP_2) | instid1(VALU_DEP_3)
	v_dual_mul_f32 v147, 0xbf68dda4, v156 :: v_dual_mul_f32 v198, 0xbf68dda4, v159
	v_dual_mul_f32 v149, 0xbf7d64f0, v156 :: v_dual_mul_f32 v232, 0xbf7d64f0, v159
	;; [unrolled: 1-line block ×3, first 2 shown]
	v_dual_fmamk_f32 v148, v155, 0x3ed4b147, v147 :: v_dual_mul_f32 v253, 0x3ed4b147, v157
	v_fma_f32 v147, 0x3ed4b147, v155, -v147
	v_mul_f32_e32 v144, 0xbf0a6770, v156
	v_mul_f32_e32 v156, 0xbe903f40, v156
	v_dual_fmamk_f32 v249, v155, 0xbe11bafb, v149 :: v_dual_fmamk_f32 v236, v248, 0xbe11bafb, v232
	v_fma_f32 v149, 0xbe11bafb, v155, -v149
	v_dual_fmamk_f32 v250, v155, 0xbf27a4f4, v154 :: v_dual_fmamk_f32 v237, v248, 0xbf27a4f4, v233
	v_fma_f32 v154, 0xbf27a4f4, v155, -v154
	v_dual_add_f32 v147, v134, v147 :: v_dual_fmamk_f32 v146, v155, 0x3f575c64, v144
	v_add_f32_e32 v249, v134, v249
	v_fma_f32 v144, 0x3f575c64, v155, -v144
	v_fmamk_f32 v251, v155, 0xbf75a155, v156
	v_fma_f32 v155, 0xbf75a155, v155, -v156
	v_mul_f32_e32 v156, 0x3f575c64, v157
	s_delay_alu instid0(VALU_DEP_4) | instskip(NEXT) | instid1(VALU_DEP_3)
	v_dual_mul_f32 v255, 0xbe11bafb, v157 :: v_dual_add_f32 v144, v134, v144
	v_dual_mul_f32 v228, 0xbf27a4f4, v157 :: v_dual_add_f32 v155, v134, v155
	v_mul_f32_e32 v157, 0xbf75a155, v157
	v_add_f32_e32 v149, v134, v149
	v_add_f32_e32 v154, v134, v154
	v_fma_f32 v232, 0xbe11bafb, v248, -v232
	v_fma_f32 v233, 0xbf27a4f4, v248, -v233
	v_fmamk_f32 v239, v158, 0x3e903f40, v157
	v_fmamk_f32 v254, v158, 0x3f68dda4, v253
	v_fmac_f32_e32 v253, 0xbf68dda4, v158
	v_fmamk_f32 v252, v158, 0x3f0a6770, v156
	v_fmac_f32_e32 v156, 0xbf0a6770, v158
	v_add_f32_e32 v148, v134, v148
	v_add_f32_e32 v250, v134, v250
	v_dual_add_f32 v236, v136, v236 :: v_dual_mul_f32 v189, 0x3ed4b147, v166
	s_delay_alu instid0(VALU_DEP_4)
	v_dual_add_f32 v156, v135, v156 :: v_dual_fmac_f32 v157, 0xbe903f40, v158
	v_fmamk_f32 v230, v158, 0x3f7d64f0, v255
	v_fmac_f32_e32 v255, 0xbf7d64f0, v158
	v_add_f32_e32 v253, v135, v253
	v_add_f32_e32 v239, v135, v239
	;; [unrolled: 1-line block ×3, first 2 shown]
	v_dual_fmamk_f32 v231, v248, 0x3ed4b147, v198 :: v_dual_add_f32 v230, v135, v230
	v_fmamk_f32 v238, v158, 0x3f4178ce, v228
	v_fma_f32 v198, 0x3ed4b147, v248, -v198
	v_add_f32_e32 v232, v136, v232
	s_delay_alu instid0(VALU_DEP_4) | instskip(NEXT) | instid1(VALU_DEP_4)
	v_add_f32_e32 v231, v136, v231
	v_dual_mul_f32 v181, 0x3ed4b147, v141 :: v_dual_add_f32 v238, v135, v238
	s_delay_alu instid0(VALU_DEP_4) | instskip(SKIP_2) | instid1(VALU_DEP_4)
	v_add_f32_e32 v198, v136, v198
	v_add_f32_e32 v237, v136, v237
	;; [unrolled: 1-line block ×3, first 2 shown]
	v_fmamk_f32 v182, v140, 0x3f68dda4, v181
	v_fmac_f32_e32 v181, 0xbf68dda4, v140
	v_fmac_f32_e32 v228, 0xbf4178ce, v158
	v_mul_f32_e32 v190, 0xbe11bafb, v169
	v_mul_f32_e32 v191, 0xbf4178ce, v173
	;; [unrolled: 1-line block ×3, first 2 shown]
	v_add_f32_e32 v181, v137, v181
	v_dual_mul_f32 v183, 0xbe11bafb, v141 :: v_dual_add_f32 v228, v135, v228
	v_mul_f32_e32 v192, 0xbf27a4f4, v246
	v_mul_f32_e32 v197, 0x3f7d64f0, v173
	;; [unrolled: 1-line block ×3, first 2 shown]
	s_delay_alu instid0(VALU_DEP_4) | instskip(SKIP_4) | instid1(VALU_DEP_4)
	v_fmamk_f32 v185, v140, 0x3f7d64f0, v183
	v_mul_f32_e32 v158, 0xbf0a6770, v159
	v_mul_f32_e32 v159, 0xbe903f40, v159
	v_fmac_f32_e32 v183, 0xbf7d64f0, v140
	v_mul_f32_e32 v195, 0xbf4178ce, v160
	v_dual_add_f32 v185, v137, v185 :: v_dual_fmamk_f32 v240, v248, 0x3f575c64, v158
	v_fma_f32 v158, 0x3f575c64, v248, -v158
	v_fmamk_f32 v229, v248, 0xbf75a155, v159
	v_fma_f32 v159, 0xbf75a155, v248, -v159
	v_mul_f32_e32 v248, 0x3f575c64, v141
	v_mul_f32_e32 v184, 0xbf27a4f4, v141
	v_dual_add_f32 v158, v136, v158 :: v_dual_add_f32 v183, v137, v183
	v_dual_mul_f32 v141, 0xbf75a155, v141 :: v_dual_add_f32 v240, v136, v240
	s_delay_alu instid0(VALU_DEP_3) | instskip(SKIP_1) | instid1(VALU_DEP_3)
	v_fmamk_f32 v186, v140, 0x3f4178ce, v184
	v_fmac_f32_e32 v184, 0xbf4178ce, v140
	v_dual_add_f32 v182, v137, v182 :: v_dual_fmamk_f32 v187, v140, 0x3e903f40, v141
	v_fmac_f32_e32 v141, 0xbe903f40, v140
	v_mul_f32_e32 v194, 0xbf75a155, v175
	v_dual_mul_f32 v196, 0xbf75a155, v169 :: v_dual_mul_f32 v211, 0xbf75a155, v246
	s_delay_alu instid0(VALU_DEP_4)
	v_dual_add_f32 v187, v137, v187 :: v_dual_fmamk_f32 v180, v140, 0x3f0a6770, v248
	v_fmac_f32_e32 v248, 0xbf0a6770, v140
	v_add_f32_e32 v140, v134, v146
	v_add_f32_e32 v146, v135, v252
	;; [unrolled: 1-line block ×5, first 2 shown]
	v_mul_f32_e32 v159, 0xbf68dda4, v160
	v_fmamk_f32 v135, v167, 0x3f68dda4, v189
	v_dual_add_f32 v251, v134, v251 :: v_dual_add_f32 v186, v137, v186
	s_delay_alu instid0(VALU_DEP_3) | instskip(NEXT) | instid1(VALU_DEP_3)
	v_dual_add_f32 v229, v136, v229 :: v_dual_fmamk_f32 v134, v161, 0x3ed4b147, v159
	v_dual_add_f32 v135, v135, v146 :: v_dual_mul_f32 v146, 0xbf7d64f0, v168
	v_add_f32_e32 v180, v137, v180
	v_add_f32_e32 v248, v137, v248
	s_delay_alu instid0(VALU_DEP_4)
	v_add_f32_e32 v134, v134, v140
	v_mul_f32_e32 v200, 0x3f0a6770, v242
	v_fmamk_f32 v136, v171, 0xbe11bafb, v146
	v_mul_f32_e32 v201, 0x3f575c64, v175
	v_mul_f32_e32 v202, 0x3e903f40, v160
	v_fmac_f32_e32 v189, 0xbf68dda4, v167
	s_barrier_wait -1
	v_add_f32_e32 v134, v136, v134
	v_fmamk_f32 v136, v172, 0x3f7d64f0, v190
	v_add_f32_e32 v184, v137, v184
	global_inv scope:SCOPE_SE
	v_mul_f32_e32 v210, 0xbe903f40, v173
	v_dual_mul_f32 v214, 0x3ed4b147, v246 :: v_dual_add_f32 v135, v136, v135
	v_fmamk_f32 v136, v245, 0xbf27a4f4, v191
	v_mul_f32_e32 v209, 0x3f575c64, v169
	s_delay_alu instid0(VALU_DEP_2) | instskip(SKIP_1) | instid1(VALU_DEP_1)
	v_dual_mul_f32 v213, 0x3ed4b147, v175 :: v_dual_add_f32 v134, v136, v134
	v_fmamk_f32 v136, v247, 0x3f4178ce, v192
	v_dual_add_f32 v188, v137, v141 :: v_dual_add_f32 v135, v136, v135
	v_fmamk_f32 v136, v241, 0xbf75a155, v193
	s_delay_alu instid0(VALU_DEP_1) | instskip(SKIP_1) | instid1(VALU_DEP_1)
	v_add_f32_e32 v134, v136, v134
	v_fmamk_f32 v136, v174, 0x3e903f40, v194
	v_dual_add_f32 v135, v136, v135 :: v_dual_fmamk_f32 v136, v161, 0xbf27a4f4, v195
	s_delay_alu instid0(VALU_DEP_1) | instskip(SKIP_1) | instid1(VALU_DEP_1)
	v_add_f32_e32 v136, v136, v148
	v_mul_f32_e32 v148, 0xbf27a4f4, v166
	v_fmamk_f32 v137, v167, 0x3f4178ce, v148
	s_delay_alu instid0(VALU_DEP_1) | instskip(SKIP_1) | instid1(VALU_DEP_1)
	v_add_f32_e32 v137, v137, v252
	v_mul_f32_e32 v252, 0x3e903f40, v168
	v_fmamk_f32 v140, v171, 0xbf75a155, v252
	s_delay_alu instid0(VALU_DEP_1) | instskip(SKIP_1) | instid1(VALU_DEP_1)
	v_add_f32_e32 v136, v140, v136
	v_fmamk_f32 v140, v172, 0xbe903f40, v196
	v_dual_add_f32 v137, v140, v137 :: v_dual_fmamk_f32 v140, v245, 0xbe11bafb, v197
	s_delay_alu instid0(VALU_DEP_1) | instskip(SKIP_2) | instid1(VALU_DEP_2)
	v_add_f32_e32 v136, v140, v136
	v_fmamk_f32 v140, v247, 0xbf7d64f0, v199
	v_fmac_f32_e32 v199, 0x3f7d64f0, v247
	v_dual_add_f32 v137, v140, v137 :: v_dual_fmamk_f32 v140, v241, 0x3f575c64, v200
	s_delay_alu instid0(VALU_DEP_1) | instskip(SKIP_2) | instid1(VALU_DEP_2)
	v_add_f32_e32 v136, v140, v136
	v_fmamk_f32 v140, v174, 0xbf0a6770, v201
	v_fmac_f32_e32 v201, 0x3f0a6770, v174
	v_dual_add_f32 v137, v140, v137 :: v_dual_fmamk_f32 v140, v161, 0xbf75a155, v202
	v_fmac_f32_e32 v192, 0xbf4178ce, v247
	s_delay_alu instid0(VALU_DEP_2) | instskip(NEXT) | instid1(VALU_DEP_1)
	v_dual_add_f32 v140, v140, v249 :: v_dual_mul_f32 v249, 0xbf75a155, v166
	v_fmamk_f32 v141, v167, 0xbe903f40, v249
	v_fmac_f32_e32 v249, 0x3e903f40, v167
	s_delay_alu instid0(VALU_DEP_2) | instskip(NEXT) | instid1(VALU_DEP_1)
	v_dual_add_f32 v141, v141, v230 :: v_dual_mul_f32 v230, 0x3f68dda4, v168
	v_fmamk_f32 v203, v171, 0x3ed4b147, v230
	s_delay_alu instid0(VALU_DEP_1) | instskip(SKIP_2) | instid1(VALU_DEP_3)
	v_dual_add_f32 v140, v203, v140 :: v_dual_mul_f32 v203, 0x3ed4b147, v169
	v_mul_f32_e32 v212, 0x3f68dda4, v242
	v_mul_f32_e32 v169, 0xbf27a4f4, v169
	v_fmamk_f32 v204, v172, 0xbf68dda4, v203
	v_fmac_f32_e32 v203, 0x3f68dda4, v172
	s_delay_alu instid0(VALU_DEP_2) | instskip(SKIP_2) | instid1(VALU_DEP_2)
	v_add_f32_e32 v141, v204, v141
	v_mul_f32_e32 v204, 0xbf0a6770, v173
	v_mul_f32_e32 v173, 0x3f68dda4, v173
	v_fmamk_f32 v205, v245, 0x3f575c64, v204
	s_delay_alu instid0(VALU_DEP_1) | instskip(NEXT) | instid1(VALU_DEP_1)
	v_dual_add_f32 v140, v205, v140 :: v_dual_mul_f32 v205, 0x3f575c64, v246
	v_fmamk_f32 v206, v247, 0x3f0a6770, v205
	v_fmac_f32_e32 v205, 0xbf0a6770, v247
	s_delay_alu instid0(VALU_DEP_2) | instskip(NEXT) | instid1(VALU_DEP_1)
	v_dual_add_f32 v141, v206, v141 :: v_dual_mul_f32 v206, 0xbf4178ce, v242
	v_fmamk_f32 v207, v241, 0xbf27a4f4, v206
	v_fmac_f32_e32 v148, 0xbf4178ce, v167
	s_delay_alu instid0(VALU_DEP_2) | instskip(SKIP_1) | instid1(VALU_DEP_2)
	v_dual_add_f32 v140, v207, v140 :: v_dual_mul_f32 v207, 0xbf27a4f4, v175
	v_mul_f32_e32 v175, 0xbe11bafb, v175
	v_fmamk_f32 v208, v174, 0x3f4178ce, v207
	v_fmac_f32_e32 v207, 0xbf4178ce, v174
	s_delay_alu instid0(VALU_DEP_2)
	v_dual_add_f32 v141, v208, v141 :: v_dual_mul_f32 v208, 0x3f7d64f0, v160
	ds_store_2addr_b64 v234, v[138:139], v[134:135] offset1:1
	ds_store_2addr_b64 v234, v[136:137], v[140:141] offset0:2 offset1:3
	v_mul_f32_e32 v160, 0x3f0a6770, v160
	v_fmamk_f32 v134, v161, 0xbe11bafb, v208
	v_fma_f32 v140, 0xbe11bafb, v171, -v146
	v_dual_add_f32 v146, v249, v254 :: v_dual_add_f32 v141, v148, v253
	s_delay_alu instid0(VALU_DEP_3) | instskip(SKIP_1) | instid1(VALU_DEP_3)
	v_add_f32_e32 v134, v134, v250
	v_mul_f32_e32 v250, 0xbe11bafb, v166
	v_add_f32_e32 v146, v203, v146
	v_mul_f32_e32 v166, 0x3f575c64, v166
	s_delay_alu instid0(VALU_DEP_3) | instskip(NEXT) | instid1(VALU_DEP_2)
	v_fmamk_f32 v135, v167, 0xbf7d64f0, v250
	v_fmamk_f32 v137, v167, 0xbf0a6770, v166
	s_delay_alu instid0(VALU_DEP_2) | instskip(SKIP_1) | instid1(VALU_DEP_3)
	v_dual_fmac_f32 v166, 0x3f0a6770, v167 :: v_dual_add_f32 v135, v135, v238
	v_mul_f32_e32 v238, 0xbf0a6770, v168
	v_dual_mul_f32 v168, 0xbf4178ce, v168 :: v_dual_add_f32 v137, v137, v239
	v_dual_mul_f32 v239, 0xbf7d64f0, v242 :: v_dual_fmac_f32 v190, 0xbf7d64f0, v172
	s_delay_alu instid0(VALU_DEP_3) | instskip(NEXT) | instid1(VALU_DEP_3)
	v_fmamk_f32 v136, v171, 0x3f575c64, v238
	v_fmamk_f32 v138, v171, 0xbf27a4f4, v168
	s_delay_alu instid0(VALU_DEP_2) | instskip(SKIP_2) | instid1(VALU_DEP_2)
	v_add_f32_e32 v134, v136, v134
	v_fmamk_f32 v136, v172, 0x3f0a6770, v209
	v_fmac_f32_e32 v209, 0xbf0a6770, v172
	v_dual_add_f32 v135, v136, v135 :: v_dual_fmamk_f32 v136, v245, 0xbf75a155, v210
	s_delay_alu instid0(VALU_DEP_1) | instskip(SKIP_2) | instid1(VALU_DEP_2)
	v_add_f32_e32 v134, v136, v134
	v_fmamk_f32 v136, v247, 0x3e903f40, v211
	v_fmac_f32_e32 v211, 0xbe903f40, v247
	v_dual_add_f32 v135, v136, v135 :: v_dual_fmamk_f32 v136, v241, 0x3ed4b147, v212
	v_fmac_f32_e32 v196, 0x3e903f40, v172
	s_delay_alu instid0(VALU_DEP_2) | instskip(SKIP_2) | instid1(VALU_DEP_4)
	v_add_f32_e32 v134, v136, v134
	v_fmamk_f32 v136, v174, 0xbf68dda4, v213
	v_fmac_f32_e32 v213, 0x3f68dda4, v174
	v_add_f32_e32 v141, v196, v141
	s_delay_alu instid0(VALU_DEP_3) | instskip(NEXT) | instid1(VALU_DEP_2)
	v_dual_add_f32 v135, v136, v135 :: v_dual_fmamk_f32 v136, v161, 0x3f575c64, v160
	v_dual_add_f32 v141, v199, v141 :: v_dual_fmac_f32 v250, 0x3f7d64f0, v167
	s_delay_alu instid0(VALU_DEP_1) | instskip(NEXT) | instid1(VALU_DEP_2)
	v_dual_add_f32 v136, v136, v251 :: v_dual_add_f32 v141, v201, v141
	v_add_f32_e32 v148, v250, v228
	s_delay_alu instid0(VALU_DEP_2) | instskip(SKIP_1) | instid1(VALU_DEP_3)
	v_add_f32_e32 v136, v138, v136
	v_fmamk_f32 v138, v172, 0x3f4178ce, v169
	v_add_f32_e32 v148, v209, v148
	v_fmac_f32_e32 v169, 0xbf4178ce, v172
	s_delay_alu instid0(VALU_DEP_3) | instskip(NEXT) | instid1(VALU_DEP_1)
	v_dual_add_f32 v137, v138, v137 :: v_dual_fmamk_f32 v138, v245, 0x3ed4b147, v173
	v_add_f32_e32 v136, v138, v136
	v_fmamk_f32 v138, v247, 0xbf68dda4, v214
	s_delay_alu instid0(VALU_DEP_1) | instskip(SKIP_1) | instid1(VALU_DEP_1)
	v_dual_fmac_f32 v214, 0x3f68dda4, v247 :: v_dual_add_f32 v137, v138, v137
	v_fmamk_f32 v138, v241, 0xbe11bafb, v239
	v_add_f32_e32 v136, v138, v136
	v_fmamk_f32 v138, v174, 0x3f7d64f0, v175
	v_fmac_f32_e32 v175, 0xbf7d64f0, v174
	s_delay_alu instid0(VALU_DEP_2) | instskip(SKIP_1) | instid1(VALU_DEP_1)
	v_add_f32_e32 v137, v138, v137
	v_fma_f32 v138, 0x3ed4b147, v161, -v159
	v_dual_mul_f32 v159, 0x3ed4b147, v142 :: v_dual_add_f32 v138, v138, v144
	v_fma_f32 v144, 0xbf75a155, v171, -v252
	s_delay_alu instid0(VALU_DEP_2) | instskip(SKIP_1) | instid1(VALU_DEP_1)
	v_add_f32_e32 v138, v140, v138
	v_fma_f32 v140, 0xbf27a4f4, v245, -v191
	v_dual_add_f32 v139, v189, v156 :: v_dual_add_f32 v138, v140, v138
	v_fma_f32 v140, 0xbf75a155, v241, -v193
	s_delay_alu instid0(VALU_DEP_1) | instskip(SKIP_1) | instid1(VALU_DEP_2)
	v_dual_add_f32 v139, v190, v139 :: v_dual_add_f32 v138, v140, v138
	v_fma_f32 v140, 0xbf27a4f4, v161, -v195
	v_add_f32_e32 v139, v192, v139
	s_delay_alu instid0(VALU_DEP_2) | instskip(SKIP_1) | instid1(VALU_DEP_2)
	v_add_f32_e32 v140, v140, v147
	v_fma_f32 v147, 0x3ed4b147, v171, -v230
	v_add_f32_e32 v140, v144, v140
	v_fma_f32 v144, 0xbe11bafb, v245, -v197
	s_delay_alu instid0(VALU_DEP_1) | instskip(SKIP_1) | instid1(VALU_DEP_1)
	v_add_f32_e32 v140, v144, v140
	v_fma_f32 v144, 0x3f575c64, v241, -v200
	v_add_f32_e32 v140, v144, v140
	v_fma_f32 v144, 0xbf75a155, v161, -v202
	s_delay_alu instid0(VALU_DEP_1) | instskip(SKIP_1) | instid1(VALU_DEP_2)
	v_add_f32_e32 v144, v144, v149
	v_fma_f32 v149, 0x3f575c64, v171, -v238
	v_add_f32_e32 v144, v147, v144
	v_fma_f32 v147, 0x3f575c64, v245, -v204
	s_delay_alu instid0(VALU_DEP_1) | instskip(SKIP_1) | instid1(VALU_DEP_1)
	v_dual_add_f32 v144, v147, v144 :: v_dual_add_f32 v147, v205, v146
	v_fma_f32 v146, 0xbf27a4f4, v241, -v206
	v_dual_add_f32 v147, v207, v147 :: v_dual_add_f32 v146, v146, v144
	v_fma_f32 v144, 0xbe11bafb, v161, -v208
	s_delay_alu instid0(VALU_DEP_1) | instskip(SKIP_1) | instid1(VALU_DEP_2)
	v_add_f32_e32 v144, v144, v154
	v_dual_add_f32 v154, v166, v157 :: v_dual_fmamk_f32 v157, v143, 0x3f68dda4, v159
	v_dual_fmac_f32 v159, 0xbf68dda4, v143 :: v_dual_add_f32 v144, v149, v144
	v_fma_f32 v149, 0xbf75a155, v245, -v210
	s_delay_alu instid0(VALU_DEP_3) | instskip(NEXT) | instid1(VALU_DEP_4)
	v_add_f32_e32 v154, v169, v154
	v_add_f32_e32 v157, v157, v180
	s_delay_alu instid0(VALU_DEP_3) | instskip(SKIP_2) | instid1(VALU_DEP_1)
	v_add_f32_e32 v144, v149, v144
	v_add_f32_e32 v149, v211, v148
	v_fma_f32 v148, 0x3ed4b147, v241, -v212
	v_dual_add_f32 v149, v213, v149 :: v_dual_add_f32 v148, v148, v144
	v_fma_f32 v144, 0x3f575c64, v161, -v160
	v_mul_f32_e32 v160, 0xbf7d64f0, v164
	s_delay_alu instid0(VALU_DEP_2) | instskip(SKIP_1) | instid1(VALU_DEP_3)
	v_add_f32_e32 v144, v144, v155
	v_fma_f32 v155, 0xbf27a4f4, v171, -v168
	v_fmamk_f32 v161, v151, 0xbe11bafb, v160
	s_delay_alu instid0(VALU_DEP_2) | instskip(SKIP_1) | instid1(VALU_DEP_1)
	v_add_f32_e32 v144, v155, v144
	v_fma_f32 v155, 0x3ed4b147, v245, -v173
	v_dual_add_f32 v144, v155, v144 :: v_dual_add_f32 v155, v214, v154
	v_fma_f32 v154, 0xbe11bafb, v241, -v239
	s_delay_alu instid0(VALU_DEP_1) | instskip(SKIP_1) | instid1(VALU_DEP_1)
	v_dual_add_f32 v155, v175, v155 :: v_dual_add_f32 v154, v154, v144
	v_mul_f32_e32 v144, 0xbf68dda4, v152
	v_fmamk_f32 v156, v145, 0x3ed4b147, v144
	v_fma_f32 v144, 0x3ed4b147, v145, -v144
	s_delay_alu instid0(VALU_DEP_2) | instskip(NEXT) | instid1(VALU_DEP_2)
	v_add_f32_e32 v156, v156, v240
	v_add_f32_e32 v144, v144, v158
	;; [unrolled: 1-line block ×3, first 2 shown]
	v_fma_f32 v159, 0xbe11bafb, v151, -v160
	s_delay_alu instid0(VALU_DEP_4) | instskip(NEXT) | instid1(VALU_DEP_2)
	v_dual_add_f32 v156, v161, v156 :: v_dual_mul_f32 v161, 0xbe11bafb, v153
	v_add_f32_e32 v144, v159, v144
	s_delay_alu instid0(VALU_DEP_2) | instskip(SKIP_1) | instid1(VALU_DEP_2)
	v_fmamk_f32 v166, v150, 0x3f7d64f0, v161
	v_fmac_f32_e32 v161, 0xbf7d64f0, v150
	v_dual_add_f32 v157, v166, v157 :: v_dual_mul_f32 v166, 0xbf4178ce, v170
	s_delay_alu instid0(VALU_DEP_1) | instskip(SKIP_2) | instid1(VALU_DEP_3)
	v_dual_add_f32 v158, v161, v158 :: v_dual_fmamk_f32 v167, v163, 0xbf27a4f4, v166
	v_fma_f32 v159, 0xbf27a4f4, v163, -v166
	v_mul_f32_e32 v166, 0xbf27a4f4, v142
	v_dual_add_f32 v156, v167, v156 :: v_dual_mul_f32 v167, 0xbf27a4f4, v165
	s_delay_alu instid0(VALU_DEP_3) | instskip(NEXT) | instid1(VALU_DEP_3)
	v_add_f32_e32 v144, v159, v144
	v_fmamk_f32 v161, v143, 0x3f4178ce, v166
	v_fmac_f32_e32 v166, 0xbf4178ce, v143
	s_delay_alu instid0(VALU_DEP_4) | instskip(SKIP_1) | instid1(VALU_DEP_3)
	v_fmamk_f32 v168, v162, 0x3f4178ce, v167
	v_fmac_f32_e32 v167, 0xbf4178ce, v162
	v_dual_add_f32 v161, v161, v182 :: v_dual_add_f32 v166, v166, v181
	s_delay_alu instid0(VALU_DEP_3) | instskip(NEXT) | instid1(VALU_DEP_3)
	v_dual_add_f32 v157, v168, v157 :: v_dual_mul_f32 v168, 0xbe903f40, v243
	v_add_f32_e32 v159, v167, v158
	v_mul_f32_e32 v167, 0x3e903f40, v164
	s_delay_alu instid0(VALU_DEP_3) | instskip(NEXT) | instid1(VALU_DEP_2)
	v_fma_f32 v158, 0xbf75a155, v244, -v168
	v_dual_fmamk_f32 v169, v244, 0xbf75a155, v168 :: v_dual_fmamk_f32 v168, v151, 0xbf75a155, v167
	v_fma_f32 v167, 0xbf75a155, v151, -v167
	s_delay_alu instid0(VALU_DEP_3) | instskip(SKIP_1) | instid1(VALU_DEP_4)
	v_add_f32_e32 v158, v158, v144
	v_mul_f32_e32 v144, 0xbf4178ce, v152
	v_dual_add_f32 v156, v169, v156 :: v_dual_mul_f32 v169, 0xbf75a155, v177
	v_fmac_f32_e32 v194, 0xbe903f40, v174
	s_delay_alu instid0(VALU_DEP_3) | instskip(SKIP_1) | instid1(VALU_DEP_4)
	v_fmamk_f32 v160, v145, 0xbf27a4f4, v144
	v_fma_f32 v144, 0xbf27a4f4, v145, -v144
	v_fmamk_f32 v171, v176, 0x3e903f40, v169
	v_fmac_f32_e32 v169, 0xbe903f40, v176
	v_add_f32_e32 v139, v194, v139
	v_add_f32_e32 v160, v160, v231
	s_delay_alu instid0(VALU_DEP_4) | instskip(NEXT) | instid1(VALU_DEP_2)
	v_dual_add_f32 v144, v144, v198 :: v_dual_add_f32 v157, v171, v157
	v_dual_add_f32 v159, v169, v159 :: v_dual_add_f32 v160, v168, v160
	v_mul_f32_e32 v168, 0xbf75a155, v153
	s_delay_alu instid0(VALU_DEP_1) | instskip(NEXT) | instid1(VALU_DEP_1)
	v_dual_add_f32 v144, v167, v144 :: v_dual_fmamk_f32 v169, v150, 0xbe903f40, v168
	v_dual_fmac_f32 v168, 0x3e903f40, v150 :: v_dual_add_f32 v161, v169, v161
	v_mul_f32_e32 v169, 0x3f7d64f0, v170
	s_delay_alu instid0(VALU_DEP_1) | instskip(SKIP_1) | instid1(VALU_DEP_2)
	v_dual_add_f32 v166, v168, v166 :: v_dual_fmamk_f32 v171, v163, 0xbe11bafb, v169
	v_fma_f32 v167, 0xbe11bafb, v163, -v169
	v_dual_add_f32 v160, v171, v160 :: v_dual_mul_f32 v171, 0xbe11bafb, v165
	s_delay_alu instid0(VALU_DEP_2) | instskip(NEXT) | instid1(VALU_DEP_2)
	v_add_f32_e32 v144, v167, v144
	v_fmamk_f32 v172, v162, 0xbf7d64f0, v171
	v_fmac_f32_e32 v171, 0x3f7d64f0, v162
	s_delay_alu instid0(VALU_DEP_2) | instskip(NEXT) | instid1(VALU_DEP_2)
	v_dual_add_f32 v161, v172, v161 :: v_dual_mul_f32 v172, 0x3f0a6770, v243
	v_add_f32_e32 v167, v171, v166
	v_mul_f32_e32 v171, 0xbf75a155, v142
	s_delay_alu instid0(VALU_DEP_3) | instskip(SKIP_2) | instid1(VALU_DEP_4)
	v_fmamk_f32 v173, v244, 0x3f575c64, v172
	v_fma_f32 v166, 0x3f575c64, v244, -v172
	v_mul_f32_e32 v172, 0x3f68dda4, v164
	v_fmamk_f32 v169, v143, 0xbe903f40, v171
	s_delay_alu instid0(VALU_DEP_4) | instskip(NEXT) | instid1(VALU_DEP_4)
	v_dual_fmac_f32 v171, 0x3e903f40, v143 :: v_dual_add_f32 v160, v173, v160
	v_dual_mul_f32 v173, 0x3f575c64, v177 :: v_dual_add_f32 v166, v166, v144
	s_delay_alu instid0(VALU_DEP_3) | instskip(NEXT) | instid1(VALU_DEP_2)
	v_dual_mul_f32 v144, 0x3e903f40, v152 :: v_dual_add_f32 v169, v169, v185
	v_dual_add_f32 v171, v171, v183 :: v_dual_fmamk_f32 v174, v176, 0xbf0a6770, v173
	v_fmac_f32_e32 v173, 0x3f0a6770, v176
	s_delay_alu instid0(VALU_DEP_3) | instskip(SKIP_1) | instid1(VALU_DEP_4)
	v_fmamk_f32 v168, v145, 0xbf75a155, v144
	v_fma_f32 v144, 0xbf75a155, v145, -v144
	v_add_f32_e32 v161, v174, v161
	s_delay_alu instid0(VALU_DEP_3) | instskip(NEXT) | instid1(VALU_DEP_3)
	v_dual_add_f32 v167, v173, v167 :: v_dual_add_f32 v168, v168, v236
	v_dual_fmamk_f32 v173, v151, 0x3ed4b147, v172 :: v_dual_add_f32 v144, v144, v232
	v_fma_f32 v172, 0x3ed4b147, v151, -v172
	s_delay_alu instid0(VALU_DEP_2) | instskip(NEXT) | instid1(VALU_DEP_2)
	v_dual_add_f32 v168, v173, v168 :: v_dual_mul_f32 v173, 0x3ed4b147, v153
	v_add_f32_e32 v144, v172, v144
	s_delay_alu instid0(VALU_DEP_2) | instskip(SKIP_1) | instid1(VALU_DEP_2)
	v_fmamk_f32 v174, v150, 0xbf68dda4, v173
	v_fmac_f32_e32 v173, 0x3f68dda4, v150
	v_dual_add_f32 v169, v174, v169 :: v_dual_mul_f32 v174, 0xbf0a6770, v170
	s_delay_alu instid0(VALU_DEP_2) | instskip(NEXT) | instid1(VALU_DEP_2)
	v_add_f32_e32 v171, v173, v171
	v_fmamk_f32 v175, v163, 0x3f575c64, v174
	v_fma_f32 v172, 0x3f575c64, v163, -v174
	s_delay_alu instid0(VALU_DEP_2) | instskip(NEXT) | instid1(VALU_DEP_2)
	v_dual_add_f32 v168, v175, v168 :: v_dual_mul_f32 v175, 0x3f575c64, v165
	v_add_f32_e32 v144, v172, v144
	s_delay_alu instid0(VALU_DEP_2) | instskip(SKIP_1) | instid1(VALU_DEP_2)
	v_fmamk_f32 v180, v162, 0x3f0a6770, v175
	v_fmac_f32_e32 v175, 0xbf0a6770, v162
	v_dual_add_f32 v169, v180, v169 :: v_dual_mul_f32 v180, 0xbf4178ce, v243
	s_delay_alu instid0(VALU_DEP_2) | instskip(SKIP_1) | instid1(VALU_DEP_3)
	v_dual_add_f32 v172, v175, v171 :: v_dual_mul_f32 v175, 0xbe11bafb, v142
	v_mul_f32_e32 v142, 0x3f575c64, v142
	v_fmamk_f32 v181, v244, 0xbf27a4f4, v180
	v_fma_f32 v171, 0xbf27a4f4, v244, -v180
	v_mul_f32_e32 v180, 0xbf0a6770, v164
	v_fmamk_f32 v174, v143, 0xbf7d64f0, v175
	s_delay_alu instid0(VALU_DEP_4)
	v_dual_fmac_f32 v175, 0x3f7d64f0, v143 :: v_dual_add_f32 v168, v181, v168
	v_mul_f32_e32 v181, 0xbf27a4f4, v177
	v_add_f32_e32 v171, v171, v144
	v_mul_f32_e32 v144, 0x3f7d64f0, v152
	v_add_f32_e32 v174, v174, v186
	v_mul_f32_e32 v152, 0x3f0a6770, v152
	v_fmamk_f32 v182, v176, 0x3f4178ce, v181
	v_fmac_f32_e32 v181, 0xbf4178ce, v176
	v_fmamk_f32 v173, v145, 0xbe11bafb, v144
	v_fma_f32 v144, 0xbe11bafb, v145, -v144
	v_add_f32_e32 v175, v175, v184
	s_delay_alu instid0(VALU_DEP_4) | instskip(NEXT) | instid1(VALU_DEP_4)
	v_dual_add_f32 v169, v182, v169 :: v_dual_add_f32 v172, v181, v172
	v_add_f32_e32 v173, v173, v237
	s_delay_alu instid0(VALU_DEP_4) | instskip(SKIP_1) | instid1(VALU_DEP_2)
	v_dual_fmamk_f32 v181, v151, 0x3f575c64, v180 :: v_dual_add_f32 v144, v144, v233
	v_fma_f32 v180, 0x3f575c64, v151, -v180
	v_dual_mul_f32 v164, 0xbf4178ce, v164 :: v_dual_add_f32 v173, v181, v173
	s_delay_alu instid0(VALU_DEP_2) | instskip(SKIP_3) | instid1(VALU_DEP_4)
	v_dual_mul_f32 v181, 0x3f575c64, v153 :: v_dual_add_f32 v144, v180, v144
	v_fmamk_f32 v180, v145, 0x3f575c64, v152
	v_fma_f32 v145, 0x3f575c64, v145, -v152
	v_fmamk_f32 v152, v143, 0xbf0a6770, v142
	v_fmamk_f32 v182, v150, 0x3f0a6770, v181
	v_fmac_f32_e32 v181, 0xbf0a6770, v150
	v_fmac_f32_e32 v142, 0x3f0a6770, v143
	v_add_f32_e32 v145, v145, v255
	s_delay_alu instid0(VALU_DEP_4) | instskip(NEXT) | instid1(VALU_DEP_4)
	v_dual_mul_f32 v153, 0xbf27a4f4, v153 :: v_dual_add_f32 v174, v182, v174
	v_dual_mul_f32 v182, 0xbe903f40, v170 :: v_dual_add_f32 v143, v181, v175
	v_dual_add_f32 v175, v180, v229 :: v_dual_fmamk_f32 v180, v151, 0xbf27a4f4, v164
	v_fma_f32 v151, 0xbf27a4f4, v151, -v164
	s_delay_alu instid0(VALU_DEP_3) | instskip(SKIP_2) | instid1(VALU_DEP_4)
	v_dual_fmamk_f32 v183, v163, 0xbf75a155, v182 :: v_dual_add_f32 v142, v142, v188
	v_fmamk_f32 v164, v150, 0x3f4178ce, v153
	v_fmac_f32_e32 v153, 0xbf4178ce, v150
	v_add_f32_e32 v145, v151, v145
	s_delay_alu instid0(VALU_DEP_4) | instskip(SKIP_3) | instid1(VALU_DEP_3)
	v_add_f32_e32 v173, v183, v173
	v_mul_f32_e32 v183, 0xbf75a155, v165
	v_dual_mul_f32 v151, 0x3f68dda4, v170 :: v_dual_add_f32 v152, v152, v187
	v_fma_f32 v150, 0xbf75a155, v163, -v182
	v_dual_add_f32 v142, v153, v142 :: v_dual_fmamk_f32 v185, v162, 0x3e903f40, v183
	s_delay_alu instid0(VALU_DEP_3) | instskip(SKIP_1) | instid1(VALU_DEP_4)
	v_fmamk_f32 v153, v163, 0x3ed4b147, v151
	v_fma_f32 v151, 0x3ed4b147, v163, -v151
	v_dual_mul_f32 v163, 0x3ed4b147, v165 :: v_dual_add_f32 v144, v150, v144
	s_delay_alu instid0(VALU_DEP_4) | instskip(SKIP_2) | instid1(VALU_DEP_4)
	v_dual_add_f32 v174, v185, v174 :: v_dual_mul_f32 v185, 0x3f68dda4, v243
	v_add_f32_e32 v150, v180, v175
	v_add_f32_e32 v152, v164, v152
	v_fmamk_f32 v164, v162, 0xbf68dda4, v163
	v_fmac_f32_e32 v163, 0x3f68dda4, v162
	v_fmamk_f32 v186, v244, 0x3ed4b147, v185
	v_fmac_f32_e32 v183, 0xbe903f40, v162
	v_add_f32_e32 v150, v153, v150
	s_delay_alu instid0(VALU_DEP_4) | instskip(NEXT) | instid1(VALU_DEP_4)
	v_dual_add_f32 v152, v164, v152 :: v_dual_add_f32 v153, v163, v142
	v_add_f32_e32 v173, v186, v173
	v_mul_f32_e32 v186, 0x3ed4b147, v177
	v_mul_f32_e32 v142, 0xbf7d64f0, v243
	v_dual_mul_f32 v164, 0xbe11bafb, v177 :: v_dual_add_f32 v143, v183, v143
	v_add_f32_e32 v151, v151, v145
	s_delay_alu instid0(VALU_DEP_4)
	v_fmamk_f32 v189, v176, 0xbf68dda4, v186
	v_fma_f32 v145, 0x3ed4b147, v244, -v185
	v_fmamk_f32 v162, v244, 0xbe11bafb, v142
	v_fma_f32 v163, 0xbe11bafb, v244, -v142
	v_fmac_f32_e32 v186, 0x3f68dda4, v176
	v_fmamk_f32 v165, v176, 0x3f7d64f0, v164
	v_fmac_f32_e32 v164, 0xbf7d64f0, v176
	v_add_f32_e32 v174, v189, v174
	s_delay_alu instid0(VALU_DEP_4) | instskip(NEXT) | instid1(VALU_DEP_4)
	v_dual_add_f32 v142, v145, v144 :: v_dual_add_f32 v143, v186, v143
	v_dual_add_f32 v144, v162, v150 :: v_dual_add_f32 v145, v165, v152
	s_delay_alu instid0(VALU_DEP_4)
	v_dual_add_f32 v150, v163, v151 :: v_dual_add_f32 v151, v164, v153
	ds_store_2addr_b64 v234, v[134:135], v[136:137] offset0:4 offset1:5
	ds_store_2addr_b64 v234, v[154:155], v[148:149] offset0:6 offset1:7
	;; [unrolled: 1-line block ×3, first 2 shown]
	ds_store_b64 v234, v[138:139] offset:80
	ds_store_2addr_b64 v235, v[132:133], v[156:157] offset1:1
	ds_store_2addr_b64 v235, v[160:161], v[168:169] offset0:2 offset1:3
	ds_store_2addr_b64 v235, v[173:174], v[144:145] offset0:4 offset1:5
	;; [unrolled: 1-line block ×4, first 2 shown]
	ds_store_b64 v235, v[158:159] offset:80
	s_and_saveexec_b32 s0, vcc_lo
	s_cbranch_execz .LBB0_13
; %bb.12:
	v_dual_add_f32 v132, v129, v131 :: v_dual_add_f32 v133, v128, v130
	v_dual_add_f32 v135, v23, v25 :: v_dual_add_f32 v140, v22, v24
	s_delay_alu instid0(VALU_DEP_2) | instskip(NEXT) | instid1(VALU_DEP_3)
	v_dual_sub_f32 v141, v27, v21 :: v_dual_add_f32 v132, v17, v132
	v_dual_add_f32 v133, v16, v133 :: v_dual_sub_f32 v138, v25, v23
	v_sub_f32_e32 v136, v24, v22
	v_dual_add_f32 v134, v226, v129 :: v_dual_add_f32 v137, v21, v27
	s_delay_alu instid0(VALU_DEP_3) | instskip(SKIP_2) | instid1(VALU_DEP_3)
	v_dual_add_f32 v132, v19, v132 :: v_dual_add_f32 v133, v18, v133
	v_sub_f32_e32 v139, v26, v20
	v_dual_add_f32 v144, v14, v16 :: v_dual_add_f32 v145, v12, v18
	v_dual_add_f32 v25, v25, v132 :: v_dual_add_f32 v132, v20, v26
	s_delay_alu instid0(VALU_DEP_4) | instskip(SKIP_1) | instid1(VALU_DEP_3)
	v_add_f32_e32 v24, v24, v133
	v_dual_add_f32 v133, v15, v17 :: v_dual_sub_f32 v142, v16, v14
	v_add_f32_e32 v25, v27, v25
	s_delay_alu instid0(VALU_DEP_3) | instskip(SKIP_1) | instid1(VALU_DEP_2)
	v_dual_sub_f32 v27, v17, v15 :: v_dual_add_f32 v24, v26, v24
	v_dual_add_f32 v26, v13, v19 :: v_dual_sub_f32 v143, v18, v12
	v_dual_add_f32 v17, v21, v25 :: v_dual_mul_f32 v166, 0x3f7d64f0, v27
	s_delay_alu instid0(VALU_DEP_3) | instskip(SKIP_1) | instid1(VALU_DEP_3)
	v_add_f32_e32 v20, v20, v24
	v_dual_sub_f32 v24, v19, v13 :: v_dual_mul_f32 v19, 0xbf75a155, v134
	v_add_f32_e32 v16, v23, v17
	s_delay_alu instid0(VALU_DEP_3) | instskip(SKIP_1) | instid1(VALU_DEP_3)
	v_dual_sub_f32 v18, v128, v225 :: v_dual_add_f32 v17, v22, v20
	v_mul_f32_e32 v162, 0xbe11bafb, v137
	v_dual_mul_f32 v164, 0xbe11bafb, v133 :: v_dual_add_f32 v13, v13, v16
	v_mul_f32_e32 v20, 0xbf27a4f4, v134
	s_delay_alu instid0(VALU_DEP_4) | instskip(SKIP_1) | instid1(VALU_DEP_4)
	v_dual_add_f32 v12, v12, v17 :: v_dual_mul_f32 v17, 0x3ed4b147, v134
	v_fmamk_f32 v21, v18, 0x3e903f40, v19
	v_add_f32_e32 v13, v15, v13
	s_delay_alu instid0(VALU_DEP_3) | instskip(SKIP_3) | instid1(VALU_DEP_4)
	v_dual_sub_f32 v15, v129, v226 :: v_dual_add_f32 v12, v14, v12
	v_add_f32_e32 v14, v225, v128
	v_mul_f32_e32 v16, 0xbe11bafb, v134
	v_mul_f32_e32 v128, 0x3f575c64, v134
	;; [unrolled: 1-line block ×3, first 2 shown]
	v_fmac_f32_e32 v19, 0xbe903f40, v18
	v_fmamk_f32 v25, v18, 0x3f68dda4, v17
	v_fmamk_f32 v23, v18, 0x3f7d64f0, v16
	;; [unrolled: 1-line block ×3, first 2 shown]
	v_fmac_f32_e32 v20, 0xbf4178ce, v18
	v_fmamk_f32 v129, v18, 0x3f0a6770, v128
	v_fmac_f32_e32 v128, 0xbf0a6770, v18
	v_fmamk_f32 v150, v14, 0xbe11bafb, v146
	v_mul_f32_e32 v134, 0xbf4178ce, v15
	v_dual_fmac_f32 v16, 0xbf7d64f0, v18 :: v_dual_add_f32 v13, v226, v13
	v_mul_f32_e32 v158, 0x3f0a6770, v27
	v_fma_f32 v146, 0xbe11bafb, v14, -v146
	s_delay_alu instid0(VALU_DEP_4)
	v_fmamk_f32 v149, v14, 0xbf27a4f4, v134
	v_fmac_f32_e32 v17, 0xbf68dda4, v18
	v_mul_f32_e32 v18, 0xbe903f40, v15
	v_fma_f32 v134, 0xbf27a4f4, v14, -v134
	v_mul_f32_e32 v147, 0xbf68dda4, v15
	v_mul_f32_e32 v15, 0xbf0a6770, v15
	s_delay_alu instid0(VALU_DEP_4)
	v_dual_add_f32 v23, v131, v23 :: v_dual_fmamk_f32 v148, v14, 0xbf75a155, v18
	v_fma_f32 v18, 0xbf75a155, v14, -v18
	v_add_f32_e32 v134, v130, v134
	v_dual_fmamk_f32 v151, v14, 0x3ed4b147, v147 :: v_dual_add_f32 v12, v225, v12
	v_fmamk_f32 v152, v14, 0x3f575c64, v15
	v_fma_f32 v147, 0x3ed4b147, v14, -v147
	v_fma_f32 v14, 0x3f575c64, v14, -v15
	v_add_f32_e32 v15, v131, v21
	v_dual_add_f32 v21, v130, v148 :: v_dual_add_f32 v22, v131, v22
	v_add_f32_e32 v148, v130, v149
	v_add_f32_e32 v149, v130, v150
	v_dual_add_f32 v150, v130, v151 :: v_dual_mul_f32 v157, 0xbf27a4f4, v26
	v_dual_add_f32 v151, v130, v152 :: v_dual_add_f32 v152, v131, v19
	v_add_f32_e32 v25, v131, v25
	v_dual_add_f32 v153, v130, v18 :: v_dual_add_f32 v154, v131, v20
	v_add_f32_e32 v129, v131, v129
	v_add_f32_e32 v155, v131, v16
	;; [unrolled: 1-line block ×3, first 2 shown]
	v_dual_add_f32 v131, v131, v128 :: v_dual_mul_f32 v128, 0x3f575c64, v133
	v_add_f32_e32 v146, v130, v146
	v_add_f32_e32 v147, v130, v147
	v_dual_add_f32 v130, v130, v14 :: v_dual_mul_f32 v159, 0x3ed4b147, v135
	s_delay_alu instid0(VALU_DEP_4)
	v_fmamk_f32 v14, v142, 0xbf0a6770, v128
	v_mul_f32_e32 v161, 0x3f68dda4, v138
	v_mul_f32_e32 v167, 0xbf0a6770, v24
	;; [unrolled: 1-line block ×3, first 2 shown]
	v_fmamk_f32 v16, v136, 0xbf68dda4, v159
	v_dual_add_f32 v14, v14, v15 :: v_dual_fmamk_f32 v15, v143, 0x3f4178ce, v157
	v_mul_f32_e32 v181, 0xbf75a155, v26
	v_mul_f32_e32 v168, 0xbe903f40, v138
	;; [unrolled: 1-line block ×4, first 2 shown]
	v_dual_add_f32 v14, v15, v14 :: v_dual_fmamk_f32 v15, v144, 0x3f575c64, v158
	v_mul_f32_e32 v165, 0x3f575c64, v26
	v_mul_f32_e32 v174, 0x3f68dda4, v24
	;; [unrolled: 1-line block ×3, first 2 shown]
	s_delay_alu instid0(VALU_DEP_4)
	v_dual_add_f32 v14, v16, v14 :: v_dual_add_f32 v15, v15, v21
	v_mul_f32_e32 v160, 0xbf4178ce, v24
	v_fmamk_f32 v17, v143, 0x3f0a6770, v165
	v_fmamk_f32 v21, v143, 0xbe903f40, v181
	v_mul_f32_e32 v176, 0xbf27a4f4, v137
	v_mul_f32_e32 v187, 0xbe11bafb, v26
	v_fmamk_f32 v16, v145, 0xbf27a4f4, v160
	v_mul_f32_e32 v169, 0x3ed4b147, v137
	v_mul_f32_e32 v184, 0x3f7d64f0, v138
	;; [unrolled: 1-line block ×4, first 2 shown]
	v_add_f32_e32 v15, v16, v15
	v_fmamk_f32 v16, v140, 0x3ed4b147, v161
	v_fma_f32 v26, 0xbf27a4f4, v145, -v160
	v_mul_f32_e32 v173, 0x3e903f40, v27
	v_mul_f32_e32 v177, 0xbf4178ce, v141
	s_delay_alu instid0(VALU_DEP_4)
	v_dual_mul_f32 v185, 0x3f575c64, v137 :: v_dual_add_f32 v16, v16, v15
	v_fmamk_f32 v15, v139, 0x3f7d64f0, v162
	v_fmac_f32_e32 v128, 0x3f0a6770, v142
	v_mul_f32_e32 v183, 0x3e903f40, v24
	v_mul_f32_e32 v137, 0xbf75a155, v137
	;; [unrolled: 1-line block ×3, first 2 shown]
	v_dual_add_f32 v15, v15, v14 :: v_dual_fmamk_f32 v14, v132, 0xbe11bafb, v163
	v_fmac_f32_e32 v157, 0xbf4178ce, v143
	v_fmac_f32_e32 v159, 0x3f68dda4, v136
	s_delay_alu instid0(VALU_DEP_3) | instskip(SKIP_1) | instid1(VALU_DEP_1)
	v_dual_fmac_f32 v165, 0xbf0a6770, v143 :: v_dual_add_f32 v14, v14, v16
	v_fmamk_f32 v16, v142, 0xbf7d64f0, v164
	v_add_f32_e32 v16, v16, v22
	s_delay_alu instid0(VALU_DEP_1)
	v_dual_add_f32 v16, v17, v16 :: v_dual_fmamk_f32 v17, v144, 0xbe11bafb, v166
	v_fmac_f32_e32 v162, 0xbf7d64f0, v139
	v_mul_f32_e32 v180, 0xbf27a4f4, v133
	v_mul_f32_e32 v133, 0x3ed4b147, v133
	v_fmamk_f32 v19, v143, 0xbf68dda4, v172
	v_dual_add_f32 v17, v17, v148 :: v_dual_mul_f32 v148, 0xbf75a155, v135
	v_mul_f32_e32 v188, 0xbf68dda4, v27
	v_fma_f32 v27, 0xbe11bafb, v132, -v163
	v_fmac_f32_e32 v172, 0x3f68dda4, v143
	s_delay_alu instid0(VALU_DEP_4) | instskip(NEXT) | instid1(VALU_DEP_1)
	v_fmamk_f32 v18, v136, 0x3e903f40, v148
	v_add_f32_e32 v16, v18, v16
	v_fmamk_f32 v18, v145, 0x3f575c64, v167
	s_delay_alu instid0(VALU_DEP_1) | instskip(NEXT) | instid1(VALU_DEP_1)
	v_dual_add_f32 v17, v18, v17 :: v_dual_fmamk_f32 v18, v140, 0xbf75a155, v168
	v_dual_add_f32 v18, v18, v17 :: v_dual_fmamk_f32 v17, v139, 0xbf68dda4, v169
	v_fmac_f32_e32 v169, 0x3f68dda4, v139
	s_delay_alu instid0(VALU_DEP_2) | instskip(NEXT) | instid1(VALU_DEP_1)
	v_dual_add_f32 v17, v17, v16 :: v_dual_fmamk_f32 v16, v132, 0x3ed4b147, v170
	v_add_f32_e32 v16, v16, v18
	v_fmamk_f32 v18, v142, 0xbe903f40, v171
	s_delay_alu instid0(VALU_DEP_1) | instskip(SKIP_1) | instid1(VALU_DEP_2)
	v_dual_fmac_f32 v171, 0x3e903f40, v142 :: v_dual_add_f32 v18, v18, v23
	v_fmamk_f32 v23, v143, 0x3f7d64f0, v187
	v_dual_add_f32 v18, v19, v18 :: v_dual_fmamk_f32 v19, v144, 0xbf75a155, v173
	s_delay_alu instid0(VALU_DEP_1) | instskip(SKIP_1) | instid1(VALU_DEP_1)
	v_add_f32_e32 v19, v19, v149
	v_mul_f32_e32 v149, 0x3f575c64, v135
	v_fmamk_f32 v20, v136, 0x3f0a6770, v149
	s_delay_alu instid0(VALU_DEP_1) | instskip(SKIP_1) | instid1(VALU_DEP_1)
	v_dual_fmac_f32 v149, 0xbf0a6770, v136 :: v_dual_add_f32 v18, v20, v18
	v_fmamk_f32 v20, v145, 0x3ed4b147, v174
	v_add_f32_e32 v19, v20, v19
	v_mul_f32_e32 v175, 0xbf0a6770, v138
	s_delay_alu instid0(VALU_DEP_1) | instskip(NEXT) | instid1(VALU_DEP_1)
	v_fmamk_f32 v20, v140, 0x3f575c64, v175
	v_dual_add_f32 v20, v20, v19 :: v_dual_fmamk_f32 v19, v139, 0x3f4178ce, v176
	s_delay_alu instid0(VALU_DEP_1) | instskip(NEXT) | instid1(VALU_DEP_1)
	v_dual_add_f32 v19, v19, v18 :: v_dual_fmamk_f32 v18, v132, 0xbf27a4f4, v177
	v_add_f32_e32 v18, v18, v20
	v_fmamk_f32 v20, v142, 0x3f4178ce, v180
	s_delay_alu instid0(VALU_DEP_1) | instskip(SKIP_1) | instid1(VALU_DEP_2)
	v_add_f32_e32 v20, v20, v25
	v_fma_f32 v25, 0x3f575c64, v144, -v158
	v_add_f32_e32 v20, v21, v20
	s_delay_alu instid0(VALU_DEP_2) | instskip(SKIP_3) | instid1(VALU_DEP_4)
	v_add_f32_e32 v25, v25, v153
	v_fmamk_f32 v21, v144, 0xbf27a4f4, v182
	v_fmac_f32_e32 v176, 0xbf4178ce, v139
	v_fmac_f32_e32 v181, 0x3e903f40, v143
	v_add_f32_e32 v25, v26, v25
	s_delay_alu instid0(VALU_DEP_4) | instskip(SKIP_2) | instid1(VALU_DEP_3)
	v_dual_add_f32 v21, v21, v150 :: v_dual_mul_f32 v150, 0xbe11bafb, v135
	v_fma_f32 v26, 0x3ed4b147, v140, -v161
	v_mul_f32_e32 v135, 0xbf27a4f4, v135
	v_fmamk_f32 v22, v136, 0xbf7d64f0, v150
	s_delay_alu instid0(VALU_DEP_3) | instskip(NEXT) | instid1(VALU_DEP_2)
	v_add_f32_e32 v26, v26, v25
	v_add_f32_e32 v20, v22, v20
	v_fmamk_f32 v22, v145, 0xbf75a155, v183
	s_delay_alu instid0(VALU_DEP_1) | instskip(NEXT) | instid1(VALU_DEP_1)
	v_dual_add_f32 v21, v22, v21 :: v_dual_fmamk_f32 v22, v140, 0xbe11bafb, v184
	v_dual_add_f32 v22, v22, v21 :: v_dual_fmamk_f32 v21, v139, 0xbf0a6770, v185
	v_fmac_f32_e32 v185, 0x3f0a6770, v139
	v_fmac_f32_e32 v148, 0xbe903f40, v136
	s_delay_alu instid0(VALU_DEP_3) | instskip(NEXT) | instid1(VALU_DEP_1)
	v_dual_add_f32 v21, v21, v20 :: v_dual_fmamk_f32 v20, v132, 0x3f575c64, v186
	v_add_f32_e32 v20, v20, v22
	v_fmamk_f32 v22, v142, 0x3f68dda4, v133
	v_fmac_f32_e32 v133, 0xbf68dda4, v142
	v_mul_f32_e32 v138, 0xbf4178ce, v138
	s_delay_alu instid0(VALU_DEP_2) | instskip(SKIP_2) | instid1(VALU_DEP_3)
	v_dual_add_f32 v22, v22, v129 :: v_dual_add_f32 v131, v133, v131
	v_fma_f32 v133, 0xbf75a155, v145, -v183
	v_fma_f32 v129, 0x3ed4b147, v132, -v170
	v_dual_add_f32 v22, v23, v22 :: v_dual_fmamk_f32 v23, v136, 0x3f4178ce, v135
	s_delay_alu instid0(VALU_DEP_1) | instskip(SKIP_1) | instid1(VALU_DEP_1)
	v_dual_fmac_f32 v135, 0xbf4178ce, v136 :: v_dual_add_f32 v22, v23, v22
	v_fmamk_f32 v23, v144, 0x3ed4b147, v188
	v_add_f32_e32 v23, v23, v151
	v_mul_f32_e32 v151, 0xbf7d64f0, v24
	s_delay_alu instid0(VALU_DEP_1) | instskip(SKIP_2) | instid1(VALU_DEP_3)
	v_fmamk_f32 v24, v145, 0xbe11bafb, v151
	v_fmac_f32_e32 v187, 0xbf7d64f0, v143
	v_fma_f32 v143, 0xbe11bafb, v145, -v151
	v_add_f32_e32 v23, v24, v23
	s_delay_alu instid0(VALU_DEP_3) | instskip(SKIP_1) | instid1(VALU_DEP_2)
	v_dual_fmamk_f32 v24, v140, 0xbf27a4f4, v138 :: v_dual_add_f32 v131, v187, v131
	v_fmac_f32_e32 v164, 0x3f7d64f0, v142
	v_dual_add_f32 v24, v24, v23 :: v_dual_fmamk_f32 v23, v139, 0x3e903f40, v137
	v_fmac_f32_e32 v137, 0xbe903f40, v139
	s_delay_alu instid0(VALU_DEP_4) | instskip(NEXT) | instid1(VALU_DEP_3)
	v_add_f32_e32 v135, v135, v131
	v_dual_add_f32 v23, v23, v22 :: v_dual_fmamk_f32 v22, v132, 0xbf75a155, v141
	s_delay_alu instid0(VALU_DEP_1) | instskip(SKIP_2) | instid1(VALU_DEP_2)
	v_add_f32_e32 v22, v22, v24
	v_add_f32_e32 v24, v128, v152
	v_fma_f32 v128, 0x3f575c64, v145, -v167
	v_add_f32_e32 v24, v157, v24
	s_delay_alu instid0(VALU_DEP_1) | instskip(NEXT) | instid1(VALU_DEP_1)
	v_add_f32_e32 v24, v159, v24
	v_dual_add_f32 v25, v162, v24 :: v_dual_add_f32 v24, v27, v26
	v_fma_f32 v27, 0xbe11bafb, v144, -v166
	v_add_f32_e32 v26, v164, v154
	v_fmac_f32_e32 v180, 0xbf4178ce, v142
	v_fma_f32 v142, 0xbf27a4f4, v144, -v182
	s_delay_alu instid0(VALU_DEP_4) | instskip(NEXT) | instid1(VALU_DEP_4)
	v_add_f32_e32 v27, v27, v134
	v_add_f32_e32 v26, v165, v26
	v_fmac_f32_e32 v150, 0x3f7d64f0, v136
	v_fma_f32 v136, 0xbf27a4f4, v140, -v138
	v_fma_f32 v134, 0x3ed4b147, v145, -v174
	v_add_f32_e32 v27, v128, v27
	v_fma_f32 v128, 0xbf75a155, v140, -v168
	v_add_f32_e32 v26, v148, v26
	v_add_f32_e32 v142, v142, v147
	s_delay_alu instid0(VALU_DEP_2) | instskip(NEXT) | instid1(VALU_DEP_2)
	v_dual_add_f32 v128, v128, v27 :: v_dual_add_f32 v27, v169, v26
	v_add_f32_e32 v133, v133, v142
	v_fma_f32 v142, 0xbe11bafb, v140, -v184
	s_delay_alu instid0(VALU_DEP_3) | instskip(SKIP_2) | instid1(VALU_DEP_4)
	v_add_f32_e32 v26, v129, v128
	v_fma_f32 v129, 0xbf75a155, v144, -v173
	v_fma_f32 v144, 0x3ed4b147, v144, -v188
	v_dual_add_f32 v128, v171, v155 :: v_dual_add_f32 v133, v142, v133
	s_delay_alu instid0(VALU_DEP_3) | instskip(NEXT) | instid1(VALU_DEP_3)
	v_add_f32_e32 v129, v129, v146
	v_add_f32_e32 v130, v144, v130
	s_delay_alu instid0(VALU_DEP_3) | instskip(SKIP_2) | instid1(VALU_DEP_4)
	v_add_f32_e32 v128, v172, v128
	v_fma_f32 v146, 0xbf27a4f4, v132, -v177
	v_fma_f32 v138, 0x3f575c64, v132, -v186
	v_dual_add_f32 v129, v134, v129 :: v_dual_add_f32 v130, v143, v130
	v_fma_f32 v134, 0x3f575c64, v140, -v175
	v_add_f32_e32 v128, v149, v128
	v_fma_f32 v132, 0xbf75a155, v132, -v141
	s_delay_alu instid0(VALU_DEP_4) | instskip(SKIP_3) | instid1(VALU_DEP_2)
	v_add_f32_e32 v136, v136, v130
	scratch_load_b32 v130, off, off offset:184 th:TH_LOAD_LU ; 4-byte Folded Reload
	v_dual_add_f32 v134, v134, v129 :: v_dual_add_f32 v129, v176, v128
	v_add_f32_e32 v132, v132, v136
	v_add_f32_e32 v128, v146, v134
	;; [unrolled: 1-line block ×3, first 2 shown]
	s_delay_alu instid0(VALU_DEP_1) | instskip(NEXT) | instid1(VALU_DEP_1)
	v_add_f32_e32 v134, v181, v134
	v_add_f32_e32 v134, v150, v134
	s_delay_alu instid0(VALU_DEP_1)
	v_add_f32_e32 v131, v185, v134
	s_wait_loadcnt 0x0
	v_dual_add_f32 v130, v138, v133 :: v_dual_lshlrev_b32 v139, 3, v130
	v_add_f32_e32 v133, v137, v135
	ds_store_2addr_b64 v139, v[12:13], v[22:23] offset1:1
	ds_store_2addr_b64 v139, v[20:21], v[18:19] offset0:2 offset1:3
	ds_store_2addr_b64 v139, v[16:17], v[14:15] offset0:4 offset1:5
	;; [unrolled: 1-line block ×4, first 2 shown]
	ds_store_b64 v139, v[132:133] offset:80
.LBB0_13:
	s_wait_alu 0xfffe
	s_or_b32 exec_lo, exec_lo, s0
	v_add_nc_u32_e32 v129, 0x400, v227
	v_add_nc_u32_e32 v26, 0x1000, v227
	;; [unrolled: 1-line block ×3, first 2 shown]
	global_wb scope:SCOPE_SE
	s_wait_dscnt 0x0
	s_barrier_signal -1
	s_barrier_wait -1
	global_inv scope:SCOPE_SE
	ds_load_2addr_b64 v[12:15], v129 offset0:92 offset1:147
	ds_load_2addr_b64 v[130:133], v26 offset0:38 offset1:93
	ds_load_2addr_b64 v[134:137], v25 offset0:2 offset1:57
	v_add_nc_u32_e32 v24, 0x2000, v227
	ds_load_2addr_b64 v[20:23], v227 offset1:55
	ds_load_2addr_b64 v[16:19], v227 offset0:110 offset1:165
	v_add_nc_u32_e32 v128, 0x1c00, v227
	s_mov_b32 s2, 0x4a19b16e
	s_mov_b32 s3, 0x3f47d4ce
	s_wait_dscnt 0x3
	v_mul_f32_e32 v169, v11, v131
	v_mul_f32_e32 v168, v9, v15
	s_wait_dscnt 0x2
	v_dual_mul_f32 v170, v5, v137 :: v_dual_add_nc_u32 v27, 0x800, v227
	v_mul_f32_e32 v9, v9, v14
	v_mul_f32_e32 v11, v11, v130
	;; [unrolled: 1-line block ×3, first 2 shown]
	s_delay_alu instid0(VALU_DEP_4)
	v_dual_fmac_f32 v170, v4, v136 :: v_dual_fmac_f32 v169, v10, v130
	v_fmac_f32_e32 v168, v8, v14
	ds_load_2addr_b64 v[138:141], v24 offset0:76 offset1:131
	ds_load_b64 v[166:167], v227 offset:10560
	ds_load_2addr_b64 v[142:145], v27 offset0:74 offset1:129
	ds_load_2addr_b64 v[146:149], v25 offset0:112 offset1:167
	;; [unrolled: 1-line block ×6, first 2 shown]
	v_fma_f32 v130, v10, v131, -v11
	v_fma_f32 v131, v4, v137, -v5
	;; [unrolled: 1-line block ×3, first 2 shown]
	global_wb scope:SCOPE_SE
	s_wait_dscnt 0x0
	s_barrier_signal -1
	s_barrier_wait -1
	global_inv scope:SCOPE_SE
	v_mul_f32_e32 v137, v3, v133
	v_mul_f32_e32 v14, v47, v135
	;; [unrolled: 1-line block ×3, first 2 shown]
	s_delay_alu instid0(VALU_DEP_3) | instskip(SKIP_2) | instid1(VALU_DEP_4)
	v_dual_mul_f32 v4, v7, v138 :: v_dual_fmac_f32 v137, v2, v132
	v_mul_f32_e32 v136, v1, v143
	v_mul_f32_e32 v1, v1, v142
	v_fmac_f32_e32 v5, v6, v138
	s_delay_alu instid0(VALU_DEP_4) | instskip(NEXT) | instid1(VALU_DEP_4)
	v_fma_f32 v138, v6, v139, -v4
	v_dual_sub_f32 v7, v130, v131 :: v_dual_fmac_f32 v136, v0, v142
	s_delay_alu instid0(VALU_DEP_4) | instskip(SKIP_3) | instid1(VALU_DEP_3)
	v_fma_f32 v139, v0, v143, -v1
	v_dual_mul_f32 v0, v3, v132 :: v_dual_mul_f32 v1, v29, v146
	v_mul_f32_e32 v142, v31, v141
	v_dual_mul_f32 v3, v31, v140 :: v_dual_mul_f32 v132, v29, v147
	v_fma_f32 v133, v2, v133, -v0
	v_mul_f32_e32 v2, v53, v158
	s_delay_alu instid0(VALU_DEP_4) | instskip(NEXT) | instid1(VALU_DEP_4)
	v_fmac_f32_e32 v142, v30, v140
	v_fma_f32 v140, v30, v141, -v3
	v_mul_f32_e32 v141, v61, v145
	v_dual_mul_f32 v0, v61, v144 :: v_dual_mul_f32 v61, v63, v151
	v_fma_f32 v143, v28, v147, -v1
	v_mul_f32_e32 v1, v63, v150
	v_mul_f32_e32 v63, v57, v149
	v_fmac_f32_e32 v141, v60, v144
	v_fma_f32 v60, v60, v145, -v0
	v_dual_mul_f32 v0, v57, v148 :: v_dual_fmac_f32 v61, v62, v150
	s_delay_alu instid0(VALU_DEP_4) | instskip(SKIP_2) | instid1(VALU_DEP_4)
	v_fmac_f32_e32 v63, v56, v148
	v_fmac_f32_e32 v132, v28, v146
	v_fma_f32 v62, v62, v151, -v1
	v_fma_f32 v56, v56, v149, -v0
	v_mul_f32_e32 v0, v55, v152
	v_mul_f32_e32 v1, v59, v154
	v_fma_f32 v144, v52, v159, -v2
	v_mul_f32_e32 v146, v49, v163
	v_mul_f32_e32 v57, v59, v155
	v_fma_f32 v148, v54, v153, -v0
	v_dual_mul_f32 v0, v51, v156 :: v_dual_mul_f32 v59, v53, v159
	v_mul_f32_e32 v2, v47, v134
	v_mul_f32_e32 v147, v51, v157
	v_dual_mul_f32 v145, v55, v153 :: v_dual_fmac_f32 v14, v46, v134
	s_delay_alu instid0(VALU_DEP_4) | instskip(SKIP_4) | instid1(VALU_DEP_4)
	v_fma_f32 v150, v50, v157, -v0
	v_add_f32_e32 v0, v169, v170
	v_fmac_f32_e32 v146, v48, v162
	v_fma_f32 v11, v46, v135, -v2
	v_dual_add_f32 v2, v20, v168 :: v_dual_sub_f32 v3, v171, v138
	v_fma_f32 v0, -0.5, v0, v20
	v_fmac_f32_e32 v57, v58, v154
	v_fma_f32 v58, v58, v155, -v1
	v_dual_mul_f32 v1, v49, v162 :: v_dual_sub_f32 v4, v168, v169
	v_dual_fmac_f32 v145, v54, v152 :: v_dual_sub_f32 v6, v5, v170
	v_dual_fmac_f32 v147, v50, v156 :: v_dual_add_f32 v8, v168, v5
	s_delay_alu instid0(VALU_DEP_3) | instskip(SKIP_1) | instid1(VALU_DEP_4)
	v_fma_f32 v149, v48, v163, -v1
	v_mul_f32_e32 v1, v45, v160
	v_dual_mul_f32 v15, v45, v161 :: v_dual_add_f32 v30, v4, v6
	s_delay_alu instid0(VALU_DEP_4) | instskip(SKIP_1) | instid1(VALU_DEP_4)
	v_fma_f32 v4, -0.5, v8, v20
	v_add_f32_e32 v31, v21, v171
	v_fma_f32 v10, v44, v161, -v1
	v_mul_f32_e32 v1, v41, v164
	v_sub_f32_e32 v45, v139, v140
	v_fmamk_f32 v6, v7, 0x3f737871, v4
	v_dual_fmac_f32 v4, 0xbf737871, v7 :: v_dual_sub_f32 v53, v60, v58
	s_delay_alu instid0(VALU_DEP_4) | instskip(SKIP_4) | instid1(VALU_DEP_3)
	v_fma_f32 v28, v40, v165, -v1
	v_dual_add_f32 v1, v2, v169 :: v_dual_fmamk_f32 v2, v3, 0xbf737871, v0
	v_dual_fmac_f32 v0, 0x3f737871, v3 :: v_dual_sub_f32 v49, v136, v142
	v_dual_add_f32 v55, v62, v56 :: v_dual_add_f32 v46, v136, v142
	v_sub_f32_e32 v48, v140, v143
	v_dual_fmac_f32 v0, 0x3f167918, v7 :: v_dual_mul_f32 v9, v43, v166
	v_dual_fmac_f32 v4, 0x3f167918, v3 :: v_dual_add_f32 v1, v1, v170
	v_fmac_f32_e32 v15, v44, v160
	s_delay_alu instid0(VALU_DEP_3) | instskip(NEXT) | instid1(VALU_DEP_4)
	v_dual_mul_f32 v135, v43, v167 :: v_dual_fmac_f32 v0, 0x3e9e377a, v30
	v_fma_f32 v20, v42, v167, -v9
	s_delay_alu instid0(VALU_DEP_4)
	v_add_f32_e32 v8, v1, v5
	v_sub_f32_e32 v1, v169, v168
	v_sub_f32_e32 v9, v170, v5
	v_dual_fmac_f32 v135, v42, v166 :: v_dual_fmac_f32 v6, 0xbf167918, v3
	v_add_f32_e32 v42, v137, v132
	v_add_f32_e32 v43, v22, v136
	s_delay_alu instid0(VALU_DEP_4) | instskip(SKIP_2) | instid1(VALU_DEP_3)
	v_dual_add_f32 v9, v1, v9 :: v_dual_sub_f32 v44, v142, v132
	v_add_f32_e32 v50, v61, v63
	v_add_f32_e32 v54, v141, v57
	v_dual_fmac_f32 v6, 0x3e9e377a, v9 :: v_dual_fmac_f32 v59, v52, v158
	v_dual_fmac_f32 v2, 0xbf167918, v7 :: v_dual_mul_f32 v29, v41, v165
	v_add_f32_e32 v7, v31, v130
	v_sub_f32_e32 v31, v168, v5
	v_add_f32_e32 v5, v171, v138
	s_delay_alu instid0(VALU_DEP_4) | instskip(SKIP_2) | instid1(VALU_DEP_4)
	v_dual_fmac_f32 v2, 0x3e9e377a, v30 :: v_dual_fmac_f32 v29, v40, v164
	v_add_f32_e32 v40, v130, v131
	v_dual_sub_f32 v30, v171, v130 :: v_dual_sub_f32 v41, v138, v131
	v_fma_f32 v5, -0.5, v5, v21
	v_add_f32_e32 v7, v7, v131
	s_delay_alu instid0(VALU_DEP_4) | instskip(NEXT) | instid1(VALU_DEP_4)
	v_fma_f32 v1, -0.5, v40, v21
	v_dual_sub_f32 v40, v169, v170 :: v_dual_add_f32 v21, v30, v41
	v_dual_sub_f32 v30, v130, v171 :: v_dual_sub_f32 v41, v131, v138
	s_delay_alu instid0(VALU_DEP_3) | instskip(SKIP_2) | instid1(VALU_DEP_4)
	v_fmamk_f32 v3, v31, 0x3f737871, v1
	v_fmac_f32_e32 v1, 0xbf737871, v31
	v_fmac_f32_e32 v4, 0x3e9e377a, v9
	v_dual_sub_f32 v52, v57, v63 :: v_dual_add_f32 v41, v30, v41
	s_delay_alu instid0(VALU_DEP_4) | instskip(NEXT) | instid1(VALU_DEP_4)
	v_fmac_f32_e32 v3, 0x3f167918, v40
	v_fmac_f32_e32 v1, 0xbf167918, v40
	v_fma_f32 v30, -0.5, v42, v22
	v_sub_f32_e32 v42, v136, v137
	v_fma_f32 v22, -0.5, v46, v22
	s_delay_alu instid0(VALU_DEP_4) | instskip(SKIP_1) | instid1(VALU_DEP_4)
	v_dual_add_f32 v46, v133, v143 :: v_dual_fmac_f32 v1, 0x3e9e377a, v21
	v_sub_f32_e32 v131, v150, v149
	v_add_f32_e32 v47, v42, v44
	v_fmac_f32_e32 v3, 0x3e9e377a, v21
	v_add_f32_e32 v21, v43, v137
	v_dual_sub_f32 v43, v133, v143 :: v_dual_sub_f32 v134, v135, v29
	s_delay_alu instid0(VALU_DEP_2) | instskip(NEXT) | instid1(VALU_DEP_2)
	v_dual_add_f32 v130, v148, v149 :: v_dual_add_f32 v21, v21, v132
	v_fmamk_f32 v44, v43, 0x3f737871, v22
	v_dual_fmac_f32 v22, 0xbf737871, v43 :: v_dual_add_f32 v9, v7, v138
	v_fmamk_f32 v7, v40, 0xbf737871, v5
	v_fmac_f32_e32 v5, 0x3f737871, v40
	v_fmamk_f32 v40, v45, 0xbf737871, v30
	v_add_f32_e32 v42, v21, v142
	v_sub_f32_e32 v21, v137, v136
	v_dual_fmac_f32 v7, 0x3f167918, v31 :: v_dual_fmac_f32 v22, 0x3f167918, v45
	v_fmac_f32_e32 v5, 0xbf167918, v31
	v_dual_sub_f32 v31, v132, v142 :: v_dual_fmac_f32 v44, 0xbf167918, v45
	s_delay_alu instid0(VALU_DEP_3) | instskip(SKIP_2) | instid1(VALU_DEP_4)
	v_fmac_f32_e32 v7, 0x3e9e377a, v41
	v_fmac_f32_e32 v30, 0x3f737871, v45
	v_add_f32_e32 v136, v15, v135
	v_add_f32_e32 v21, v21, v31
	v_fma_f32 v31, -0.5, v46, v23
	v_sub_f32_e32 v46, v139, v133
	s_delay_alu instid0(VALU_DEP_3) | instskip(NEXT) | instid1(VALU_DEP_2)
	v_fmac_f32_e32 v44, 0x3e9e377a, v21
	v_dual_fmac_f32 v22, 0x3e9e377a, v21 :: v_dual_add_f32 v21, v46, v48
	v_sub_f32_e32 v46, v133, v139
	v_sub_f32_e32 v48, v143, v140
	v_fmac_f32_e32 v40, 0xbf167918, v43
	s_delay_alu instid0(VALU_DEP_2)
	v_dual_fmac_f32 v30, 0x3f167918, v43 :: v_dual_add_f32 v51, v46, v48
	v_add_f32_e32 v48, v16, v141
	v_fmac_f32_e32 v5, 0x3e9e377a, v41
	v_add_f32_e32 v41, v23, v139
	v_fma_f32 v46, -0.5, v50, v16
	v_fma_f32 v16, -0.5, v54, v16
	v_dual_add_f32 v45, v139, v140 :: v_dual_sub_f32 v50, v141, v61
	s_delay_alu instid0(VALU_DEP_4) | instskip(SKIP_1) | instid1(VALU_DEP_3)
	v_dual_add_f32 v41, v41, v133 :: v_dual_fmac_f32 v40, 0x3e9e377a, v47
	v_dual_fmac_f32 v30, 0x3e9e377a, v47 :: v_dual_sub_f32 v47, v137, v132
	v_dual_fmac_f32 v23, -0.5, v45 :: v_dual_add_f32 v54, v17, v60
	s_delay_alu instid0(VALU_DEP_3) | instskip(SKIP_2) | instid1(VALU_DEP_4)
	v_add_f32_e32 v43, v41, v143
	v_fmamk_f32 v41, v49, 0x3f737871, v31
	v_fmac_f32_e32 v31, 0xbf737871, v49
	v_fmamk_f32 v45, v47, 0xbf737871, v23
	v_dual_fmac_f32 v23, 0x3f737871, v47 :: v_dual_add_f32 v132, v14, v29
	s_delay_alu instid0(VALU_DEP_4) | instskip(NEXT) | instid1(VALU_DEP_4)
	v_fmac_f32_e32 v41, 0x3f167918, v47
	v_fmac_f32_e32 v31, 0xbf167918, v47
	v_sub_f32_e32 v47, v62, v56
	v_sub_f32_e32 v133, v10, v20
	v_add_f32_e32 v137, v13, v10
	v_fmac_f32_e32 v41, 0x3e9e377a, v21
	v_fmac_f32_e32 v31, 0x3e9e377a, v21
	v_dual_add_f32 v21, v48, v61 :: v_dual_fmamk_f32 v48, v53, 0xbf737871, v46
	s_delay_alu instid0(VALU_DEP_1) | instskip(NEXT) | instid1(VALU_DEP_2)
	v_dual_fmac_f32 v46, 0x3f737871, v53 :: v_dual_add_f32 v21, v21, v63
	v_fmac_f32_e32 v48, 0xbf167918, v47
	s_delay_alu instid0(VALU_DEP_2)
	v_dual_fmac_f32 v46, 0x3f167918, v47 :: v_dual_fmac_f32 v45, 0x3f167918, v49
	v_fmac_f32_e32 v23, 0xbf167918, v49
	v_dual_add_f32 v49, v50, v52 :: v_dual_fmamk_f32 v52, v47, 0x3f737871, v16
	v_fmac_f32_e32 v16, 0xbf737871, v47
	v_fma_f32 v47, -0.5, v55, v17
	v_sub_f32_e32 v55, v141, v57
	v_fmac_f32_e32 v45, 0x3e9e377a, v51
	v_fmac_f32_e32 v52, 0xbf167918, v53
	v_dual_fmac_f32 v16, 0x3f167918, v53 :: v_dual_add_f32 v53, v60, v58
	v_dual_fmac_f32 v23, 0x3e9e377a, v51 :: v_dual_add_f32 v50, v21, v57
	v_fmac_f32_e32 v48, 0x3e9e377a, v49
	v_sub_f32_e32 v21, v61, v141
	v_sub_f32_e32 v51, v63, v57
	v_fmac_f32_e32 v46, 0x3e9e377a, v49
	v_fmamk_f32 v49, v55, 0x3f737871, v47
	v_sub_f32_e32 v57, v61, v63
	v_fma_f32 v17, -0.5, v53, v17
	v_fmac_f32_e32 v47, 0xbf737871, v55
	v_sub_f32_e32 v61, v58, v56
	v_add_f32_e32 v63, v59, v147
	v_fmac_f32_e32 v49, 0x3f167918, v57
	v_fmamk_f32 v53, v57, 0xbf737871, v17
	v_fmac_f32_e32 v47, 0xbf167918, v57
	v_fmac_f32_e32 v17, 0x3f737871, v57
	v_sub_f32_e32 v57, v148, v149
	v_add_f32_e32 v21, v21, v51
	v_add_f32_e32 v51, v54, v62
	v_dual_sub_f32 v54, v60, v62 :: v_dual_add_f32 v43, v43, v140
	v_fmac_f32_e32 v53, 0x3f167918, v55
	s_delay_alu instid0(VALU_DEP_4) | instskip(SKIP_1) | instid1(VALU_DEP_4)
	v_fmac_f32_e32 v52, 0x3e9e377a, v21
	v_fmac_f32_e32 v16, 0x3e9e377a, v21
	v_add_f32_e32 v21, v54, v61
	v_dual_sub_f32 v54, v62, v60 :: v_dual_sub_f32 v61, v144, v150
	v_dual_add_f32 v51, v51, v56 :: v_dual_sub_f32 v56, v56, v58
	s_delay_alu instid0(VALU_DEP_3) | instskip(SKIP_1) | instid1(VALU_DEP_3)
	v_fmac_f32_e32 v49, 0x3e9e377a, v21
	v_dual_fmac_f32 v47, 0x3e9e377a, v21 :: v_dual_sub_f32 v62, v147, v146
	v_dual_add_f32 v51, v51, v58 :: v_dual_add_f32 v60, v54, v56
	v_add_f32_e32 v56, v18, v59
	v_dual_add_f32 v58, v145, v146 :: v_dual_fmac_f32 v17, 0xbf167918, v55
	v_sub_f32_e32 v55, v146, v147
	s_delay_alu instid0(VALU_DEP_4) | instskip(NEXT) | instid1(VALU_DEP_4)
	v_fmac_f32_e32 v53, 0x3e9e377a, v60
	v_add_f32_e32 v21, v56, v145
	s_delay_alu instid0(VALU_DEP_4)
	v_fma_f32 v54, -0.5, v58, v18
	v_sub_f32_e32 v58, v59, v145
	v_fma_f32 v18, -0.5, v63, v18
	v_fmac_f32_e32 v17, 0x3e9e377a, v60
	v_add_f32_e32 v21, v21, v146
	v_fmamk_f32 v56, v61, 0xbf737871, v54
	v_add_f32_e32 v62, v58, v62
	v_fmac_f32_e32 v54, 0x3f737871, v61
	v_fmamk_f32 v60, v57, 0x3f737871, v18
	v_add_f32_e32 v58, v21, v147
	v_sub_f32_e32 v21, v145, v59
	v_dual_add_f32 v63, v19, v144 :: v_dual_fmac_f32 v18, 0xbf737871, v57
	v_fmac_f32_e32 v56, 0xbf167918, v57
	v_fmac_f32_e32 v54, 0x3f167918, v57
	s_delay_alu instid0(VALU_DEP_4) | instskip(NEXT) | instid1(VALU_DEP_4)
	v_dual_fmac_f32 v60, 0xbf167918, v61 :: v_dual_add_f32 v21, v21, v55
	v_add_f32_e32 v57, v63, v148
	v_fma_f32 v55, -0.5, v130, v19
	v_dual_sub_f32 v63, v59, v147 :: v_dual_fmac_f32 v18, 0x3f167918, v61
	v_sub_f32_e32 v130, v144, v148
	v_fmac_f32_e32 v56, 0x3e9e377a, v62
	v_fmac_f32_e32 v54, 0x3e9e377a, v62
	;; [unrolled: 1-line block ×3, first 2 shown]
	v_add_f32_e32 v59, v57, v149
	v_fmamk_f32 v57, v63, 0x3f737871, v55
	v_add_f32_e32 v61, v144, v150
	v_sub_f32_e32 v62, v145, v146
	v_dual_fmac_f32 v18, 0x3e9e377a, v21 :: v_dual_add_f32 v21, v130, v131
	v_dual_fmac_f32 v55, 0xbf737871, v63 :: v_dual_sub_f32 v130, v148, v144
	v_sub_f32_e32 v131, v149, v150
	v_fmac_f32_e32 v19, -0.5, v61
	v_fmac_f32_e32 v57, 0x3f167918, v62
	s_delay_alu instid0(VALU_DEP_4)
	v_fmac_f32_e32 v55, 0xbf167918, v62
	v_add_f32_e32 v59, v59, v150
	v_add_f32_e32 v131, v130, v131
	v_dual_add_f32 v130, v12, v15 :: v_dual_fmamk_f32 v61, v62, 0xbf737871, v19
	v_fmac_f32_e32 v57, 0x3e9e377a, v21
	v_fmac_f32_e32 v19, 0x3f737871, v62
	v_fma_f32 v62, -0.5, v132, v12
	v_fmac_f32_e32 v55, 0x3e9e377a, v21
	v_add_f32_e32 v21, v130, v14
	v_fmac_f32_e32 v61, 0x3f167918, v63
	v_fmac_f32_e32 v19, 0xbf167918, v63
	v_dual_fmamk_f32 v130, v133, 0xbf737871, v62 :: v_dual_sub_f32 v63, v11, v28
	v_sub_f32_e32 v132, v15, v14
	v_fmac_f32_e32 v62, 0x3f737871, v133
	v_add_f32_e32 v21, v21, v29
	v_fmac_f32_e32 v61, 0x3e9e377a, v131
	v_fmac_f32_e32 v130, 0xbf167918, v63
	v_add_f32_e32 v134, v132, v134
	v_fmac_f32_e32 v62, 0x3f167918, v63
	v_fma_f32 v12, -0.5, v136, v12
	v_fmac_f32_e32 v19, 0x3e9e377a, v131
	v_dual_add_f32 v132, v21, v135 :: v_dual_add_f32 v21, v11, v28
	v_sub_f32_e32 v131, v14, v15
	v_sub_f32_e32 v136, v29, v135
	;; [unrolled: 1-line block ×3, first 2 shown]
	v_dual_add_f32 v135, v10, v20 :: v_dual_fmac_f32 v130, 0x3e9e377a, v134
	v_fmac_f32_e32 v62, 0x3e9e377a, v134
	v_fmamk_f32 v134, v63, 0x3f737871, v12
	v_fmac_f32_e32 v12, 0xbf737871, v63
	v_fma_f32 v63, -0.5, v21, v13
	v_dual_sub_f32 v14, v14, v29 :: v_dual_fmac_f32 v13, -0.5, v135
	s_delay_alu instid0(VALU_DEP_4) | instskip(NEXT) | instid1(VALU_DEP_4)
	v_fmac_f32_e32 v134, 0xbf167918, v133
	v_dual_fmac_f32 v12, 0x3f167918, v133 :: v_dual_add_f32 v133, v137, v11
	v_sub_f32_e32 v29, v10, v11
	s_delay_alu instid0(VALU_DEP_4) | instskip(SKIP_3) | instid1(VALU_DEP_4)
	v_dual_fmamk_f32 v135, v14, 0xbf737871, v13 :: v_dual_sub_f32 v10, v11, v10
	v_sub_f32_e32 v11, v28, v20
	v_fmac_f32_e32 v13, 0x3f737871, v14
	v_add_f32_e32 v21, v131, v136
	v_fmac_f32_e32 v135, 0x3f167918, v15
	s_delay_alu instid0(VALU_DEP_4) | instskip(NEXT) | instid1(VALU_DEP_4)
	v_dual_fmamk_f32 v131, v15, 0x3f737871, v63 :: v_dual_add_f32 v10, v10, v11
	v_fmac_f32_e32 v13, 0xbf167918, v15
	s_delay_alu instid0(VALU_DEP_4) | instskip(SKIP_1) | instid1(VALU_DEP_4)
	v_fmac_f32_e32 v134, 0x3e9e377a, v21
	v_dual_fmac_f32 v12, 0x3e9e377a, v21 :: v_dual_add_f32 v21, v133, v28
	v_fmac_f32_e32 v135, 0x3e9e377a, v10
	s_delay_alu instid0(VALU_DEP_4)
	v_fmac_f32_e32 v13, 0x3e9e377a, v10
	scratch_load_b32 v10, off, off offset:148 th:TH_LOAD_LU ; 4-byte Folded Reload
	v_sub_f32_e32 v133, v20, v28
	v_fmac_f32_e32 v63, 0xbf737871, v15
	v_fmac_f32_e32 v131, 0x3f167918, v14
	s_wait_loadcnt 0x0
	ds_store_2addr_b64 v10, v[8:9], v[2:3] offset1:11
	ds_store_2addr_b64 v10, v[6:7], v[4:5] offset0:22 offset1:33
	ds_store_b64 v10, v[0:1] offset:352
	scratch_load_b32 v0, off, off offset:152 th:TH_LOAD_LU ; 4-byte Folded Reload
	v_dual_add_f32 v28, v29, v133 :: v_dual_fmac_f32 v63, 0xbf167918, v14
	v_add_f32_e32 v133, v21, v20
	s_wait_loadcnt 0x0
	ds_store_2addr_b64 v0, v[42:43], v[40:41] offset1:11
	ds_store_2addr_b64 v0, v[44:45], v[22:23] offset0:22 offset1:33
	ds_store_b64 v0, v[30:31] offset:352
	scratch_load_b32 v0, off, off offset:156 th:TH_LOAD_LU ; 4-byte Folded Reload
	v_fmac_f32_e32 v131, 0x3e9e377a, v28
	v_fmac_f32_e32 v63, 0x3e9e377a, v28
	s_wait_loadcnt 0x0
	ds_store_2addr_b64 v0, v[50:51], v[48:49] offset1:11
	ds_store_2addr_b64 v0, v[52:53], v[16:17] offset0:22 offset1:33
	ds_store_b64 v0, v[46:47] offset:352
	scratch_load_b32 v0, off, off offset:160 th:TH_LOAD_LU ; 4-byte Folded Reload
	s_wait_loadcnt 0x0
	ds_store_2addr_b64 v0, v[58:59], v[56:57] offset1:11
	ds_store_2addr_b64 v0, v[60:61], v[18:19] offset0:22 offset1:33
	ds_store_b64 v0, v[54:55] offset:352
	scratch_load_b32 v0, off, off offset:164 th:TH_LOAD_LU ; 4-byte Folded Reload
	s_wait_loadcnt 0x0
	ds_store_2addr_b64 v0, v[132:133], v[130:131] offset1:11
	ds_store_2addr_b64 v0, v[134:135], v[12:13] offset0:22 offset1:33
	ds_store_b64 v0, v[62:63] offset:352
	global_wb scope:SCOPE_SE
	s_wait_dscnt 0x0
	s_barrier_signal -1
	s_barrier_wait -1
	global_inv scope:SCOPE_SE
	ds_load_2addr_b64 v[0:3], v129 offset0:92 offset1:147
	ds_load_2addr_b64 v[12:15], v26 offset0:38 offset1:93
	;; [unrolled: 1-line block ×3, first 2 shown]
	ds_load_2addr_b64 v[8:11], v227 offset1:55
	ds_load_2addr_b64 v[20:23], v24 offset0:76 offset1:131
	ds_load_2addr_b64 v[28:31], v27 offset0:74 offset1:129
	;; [unrolled: 1-line block ×8, first 2 shown]
	ds_load_b64 v[60:61], v227 offset:10560
	global_wb scope:SCOPE_SE
	s_wait_dscnt 0x0
	s_barrier_signal -1
	s_barrier_wait -1
	global_inv scope:SCOPE_SE
	v_mul_f32_e32 v62, v33, v3
	v_mul_f32_e32 v130, v35, v12
	v_dual_mul_f32 v132, v37, v18 :: v_dual_mul_f32 v135, v35, v15
	s_delay_alu instid0(VALU_DEP_3) | instskip(SKIP_4) | instid1(VALU_DEP_4)
	v_fmac_f32_e32 v62, v32, v2
	v_mul_f32_e32 v2, v33, v2
	v_mul_f32_e32 v134, v33, v29
	v_fma_f32 v130, v34, v13, -v130
	v_fma_f32 v132, v36, v19, -v132
	;; [unrolled: 1-line block ×3, first 2 shown]
	v_mul_f32_e32 v2, v39, v20
	v_mul_f32_e32 v3, v33, v28
	v_fmac_f32_e32 v134, v32, v28
	s_delay_alu instid0(VALU_DEP_3) | instskip(NEXT) | instid1(VALU_DEP_3)
	v_fma_f32 v33, v38, v21, -v2
	v_fma_f32 v136, v32, v29, -v3
	v_mul_f32_e32 v2, v35, v14
	v_dual_mul_f32 v32, v39, v23 :: v_dual_mul_f32 v3, v37, v40
	v_fmac_f32_e32 v135, v34, v14
	s_delay_alu instid0(VALU_DEP_2)
	v_dual_fmac_f32 v32, v38, v22 :: v_dual_mul_f32 v131, v37, v19
	v_mul_f32_e32 v137, v37, v41
	v_fma_f32 v37, v34, v15, -v2
	v_sub_f32_e32 v15, v133, v33
	v_mul_f32_e32 v63, v35, v13
	v_dual_mul_f32 v13, v39, v21 :: v_dual_mul_f32 v2, v89, v30
	v_sub_f32_e32 v35, v33, v132
	s_delay_alu instid0(VALU_DEP_3) | instskip(NEXT) | instid1(VALU_DEP_3)
	v_dual_fmac_f32 v63, v34, v12 :: v_dual_mul_f32 v12, v39, v22
	v_fmac_f32_e32 v13, v38, v20
	v_fma_f32 v39, v36, v41, -v3
	v_mul_f32_e32 v3, v91, v44
	v_mul_f32_e32 v20, v71, v17
	v_fma_f32 v38, v38, v23, -v12
	v_mul_f32_e32 v12, v77, v52
	v_add_f32_e32 v28, v62, v13
	v_sub_f32_e32 v14, v62, v63
	s_delay_alu instid0(VALU_DEP_4) | instskip(SKIP_4) | instid1(VALU_DEP_4)
	v_dual_fmac_f32 v20, v70, v16 :: v_dual_sub_f32 v41, v136, v38
	v_dual_fmac_f32 v137, v36, v40 :: v_dual_mul_f32 v40, v89, v31
	v_mul_f32_e32 v89, v91, v45
	v_mul_f32_e32 v91, v81, v43
	v_fma_f32 v45, v90, v45, -v3
	v_dual_mul_f32 v3, v83, v48 :: v_dual_fmac_f32 v40, v88, v30
	v_fma_f32 v88, v88, v31, -v2
	s_delay_alu instid0(VALU_DEP_4)
	v_fmac_f32_e32 v91, v80, v42
	v_mul_f32_e32 v2, v81, v42
	v_mul_f32_e32 v42, v83, v49
	v_mul_f32_e32 v81, v77, v53
	v_fma_f32 v53, v76, v53, -v12
	v_fmac_f32_e32 v89, v90, v44
	v_fma_f32 v77, v80, v43, -v2
	v_fmac_f32_e32 v42, v82, v48
	v_fma_f32 v48, v82, v49, -v3
	v_dual_fmac_f32 v81, v76, v52 :: v_dual_mul_f32 v52, v79, v47
	v_mul_f32_e32 v2, v79, v46
	v_mul_f32_e32 v76, v73, v57
	;; [unrolled: 1-line block ×4, first 2 shown]
	v_fmac_f32_e32 v52, v78, v46
	v_fma_f32 v78, v78, v47, -v2
	v_fmac_f32_e32 v76, v72, v56
	v_fma_f32 v56, v72, v57, -v3
	v_mul_f32_e32 v2, v75, v50
	v_dual_mul_f32 v3, v69, v54 :: v_dual_add_f32 v44, v134, v32
	v_fmac_f32_e32 v131, v36, v18
	v_fma_f32 v19, v70, v17, -v12
	s_delay_alu instid0(VALU_DEP_4) | instskip(NEXT) | instid1(VALU_DEP_4)
	v_fma_f32 v57, v74, v51, -v2
	v_fma_f32 v18, v68, v55, -v3
	s_delay_alu instid0(VALU_DEP_4) | instskip(SKIP_2) | instid1(VALU_DEP_3)
	v_dual_mul_f32 v3, v65, v58 :: v_dual_add_f32 v2, v63, v131
	v_dual_add_f32 v12, v8, v62 :: v_dual_sub_f32 v17, v130, v132
	v_sub_f32_e32 v16, v13, v131
	v_fma_f32 v22, v64, v59, -v3
	s_delay_alu instid0(VALU_DEP_4) | instskip(NEXT) | instid1(VALU_DEP_4)
	v_fma_f32 v2, -0.5, v2, v8
	v_add_f32_e32 v3, v12, v63
	v_mul_f32_e32 v29, v67, v60
	v_fma_f32 v8, -0.5, v28, v8
	s_delay_alu instid0(VALU_DEP_4) | instskip(NEXT) | instid1(VALU_DEP_4)
	v_dual_add_f32 v31, v9, v133 :: v_dual_fmamk_f32 v12, v15, 0xbf737871, v2
	v_add_f32_e32 v3, v3, v131
	v_fmac_f32_e32 v2, 0x3f737871, v15
	v_add_f32_e32 v30, v14, v16
	v_fma_f32 v28, v66, v61, -v29
	v_fmac_f32_e32 v12, 0xbf167918, v17
	v_add_f32_e32 v16, v3, v13
	v_dual_fmamk_f32 v14, v17, 0x3f737871, v8 :: v_dual_sub_f32 v3, v63, v62
	v_sub_f32_e32 v29, v131, v13
	v_fmac_f32_e32 v2, 0x3f167918, v17
	v_add_f32_e32 v34, v130, v132
	v_dual_fmac_f32 v8, 0xbf737871, v17 :: v_dual_add_f32 v17, v31, v130
	s_delay_alu instid0(VALU_DEP_4) | instskip(NEXT) | instid1(VALU_DEP_3)
	v_dual_fmac_f32 v14, 0xbf167918, v15 :: v_dual_add_f32 v29, v3, v29
	v_fma_f32 v3, -0.5, v34, v9
	v_sub_f32_e32 v34, v62, v13
	s_delay_alu instid0(VALU_DEP_4)
	v_dual_fmac_f32 v8, 0x3f167918, v15 :: v_dual_add_f32 v15, v17, v132
	v_add_f32_e32 v17, v133, v33
	v_sub_f32_e32 v31, v133, v130
	v_fmac_f32_e32 v12, 0x3e9e377a, v30
	v_fmac_f32_e32 v2, 0x3e9e377a, v30
	;; [unrolled: 1-line block ×3, first 2 shown]
	v_dual_fmamk_f32 v13, v34, 0x3f737871, v3 :: v_dual_sub_f32 v30, v63, v131
	v_fmac_f32_e32 v8, 0x3e9e377a, v29
	v_fma_f32 v9, -0.5, v17, v9
	v_add_f32_e32 v17, v15, v33
	v_add_f32_e32 v31, v31, v35
	v_fmac_f32_e32 v3, 0xbf737871, v34
	v_sub_f32_e32 v29, v130, v133
	v_sub_f32_e32 v33, v132, v33
	v_dual_add_f32 v35, v135, v137 :: v_dual_add_f32 v36, v10, v134
	v_fmac_f32_e32 v13, 0x3f167918, v30
	v_fmamk_f32 v15, v30, 0xbf737871, v9
	v_fmac_f32_e32 v3, 0xbf167918, v30
	v_add_f32_e32 v33, v29, v33
	v_fma_f32 v29, -0.5, v35, v10
	v_fmac_f32_e32 v9, 0x3f737871, v30
	v_sub_f32_e32 v43, v32, v137
	v_fma_f32 v10, -0.5, v44, v10
	v_add_f32_e32 v44, v11, v136
	v_add_f32_e32 v30, v36, v135
	v_sub_f32_e32 v36, v37, v39
	v_sub_f32_e32 v35, v134, v135
	v_fmac_f32_e32 v15, 0x3f167918, v34
	v_fmac_f32_e32 v9, 0xbf167918, v34
	;; [unrolled: 1-line block ×4, first 2 shown]
	v_dual_add_f32 v34, v35, v43 :: v_dual_fmamk_f32 v35, v36, 0x3f737871, v10
	v_dual_fmac_f32 v10, 0xbf737871, v36 :: v_dual_fmamk_f32 v31, v41, 0xbf737871, v29
	v_fmac_f32_e32 v29, 0x3f737871, v41
	v_fmac_f32_e32 v15, 0x3e9e377a, v33
	v_fmac_f32_e32 v9, 0x3e9e377a, v33
	s_delay_alu instid0(VALU_DEP_4) | instskip(SKIP_3) | instid1(VALU_DEP_3)
	v_fmac_f32_e32 v10, 0x3f167918, v41
	v_dual_add_f32 v30, v30, v137 :: v_dual_fmac_f32 v31, 0xbf167918, v36
	v_sub_f32_e32 v43, v137, v32
	v_dual_fmac_f32 v29, 0x3f167918, v36 :: v_dual_add_f32 v46, v37, v39
	v_dual_add_f32 v33, v30, v32 :: v_dual_sub_f32 v30, v135, v134
	s_delay_alu instid0(VALU_DEP_4) | instskip(NEXT) | instid1(VALU_DEP_3)
	v_dual_add_f32 v36, v44, v37 :: v_dual_fmac_f32 v31, 0x3e9e377a, v34
	v_dual_sub_f32 v44, v134, v32 :: v_dual_fmac_f32 v29, 0x3e9e377a, v34
	s_delay_alu instid0(VALU_DEP_3) | instskip(SKIP_1) | instid1(VALU_DEP_4)
	v_add_f32_e32 v43, v30, v43
	v_fma_f32 v30, -0.5, v46, v11
	v_add_f32_e32 v34, v36, v39
	v_dual_add_f32 v36, v136, v38 :: v_dual_mul_f32 v23, v65, v59
	v_fmac_f32_e32 v35, 0xbf167918, v41
	s_delay_alu instid0(VALU_DEP_4) | instskip(SKIP_1) | instid1(VALU_DEP_4)
	v_dual_fmamk_f32 v32, v44, 0x3f737871, v30 :: v_dual_sub_f32 v41, v135, v137
	v_dual_sub_f32 v46, v136, v37 :: v_dual_sub_f32 v47, v38, v39
	v_dual_fmac_f32 v10, 0x3e9e377a, v43 :: v_dual_fmac_f32 v11, -0.5, v36
	v_dual_mul_f32 v73, v75, v51 :: v_dual_add_f32 v34, v34, v38
	v_fmac_f32_e32 v30, 0xbf737871, v44
	v_dual_sub_f32 v37, v37, v136 :: v_dual_sub_f32 v38, v39, v38
	v_mul_f32_e32 v65, v67, v61
	v_add_f32_e32 v39, v89, v91
	s_delay_alu instid0(VALU_DEP_4)
	v_dual_mul_f32 v21, v69, v55 :: v_dual_fmac_f32 v30, 0xbf167918, v41
	v_fmac_f32_e32 v35, 0x3e9e377a, v43
	v_dual_fmac_f32 v32, 0x3f167918, v41 :: v_dual_add_f32 v43, v46, v47
	v_fmamk_f32 v36, v41, 0xbf737871, v11
	v_fmac_f32_e32 v73, v74, v50
	v_dual_add_f32 v38, v37, v38 :: v_dual_fmac_f32 v65, v66, v60
	v_add_f32_e32 v50, v40, v42
	v_add_f32_e32 v46, v4, v40
	v_fma_f32 v37, -0.5, v39, v4
	v_sub_f32_e32 v47, v88, v48
	v_fmac_f32_e32 v11, 0x3f737871, v41
	v_dual_fmac_f32 v21, v68, v54 :: v_dual_fmac_f32 v30, 0x3e9e377a, v43
	v_dual_fmac_f32 v23, v64, v58 :: v_dual_fmac_f32 v32, 0x3e9e377a, v43
	v_dual_fmac_f32 v36, 0x3f167918, v44 :: v_dual_add_f32 v41, v46, v89
	v_dual_sub_f32 v46, v45, v77 :: v_dual_fmamk_f32 v39, v47, 0xbf737871, v37
	v_sub_f32_e32 v43, v40, v89
	v_sub_f32_e32 v49, v42, v91
	v_fmac_f32_e32 v11, 0xbf167918, v44
	v_fma_f32 v4, -0.5, v50, v4
	v_fmac_f32_e32 v37, 0x3f737871, v47
	v_fmac_f32_e32 v36, 0x3e9e377a, v38
	v_dual_fmac_f32 v39, 0xbf167918, v46 :: v_dual_add_f32 v44, v43, v49
	v_fmac_f32_e32 v11, 0x3e9e377a, v38
	v_dual_fmamk_f32 v43, v46, 0x3f737871, v4 :: v_dual_sub_f32 v38, v89, v40
	v_sub_f32_e32 v49, v91, v42
	v_dual_fmac_f32 v37, 0x3f167918, v46 :: v_dual_add_f32 v50, v5, v88
	v_dual_add_f32 v51, v45, v77 :: v_dual_fmac_f32 v4, 0xbf737871, v46
	v_add_f32_e32 v41, v41, v91
	v_fmac_f32_e32 v39, 0x3e9e377a, v44
	v_fmac_f32_e32 v43, 0xbf167918, v47
	v_add_f32_e32 v49, v38, v49
	v_add_f32_e32 v46, v50, v45
	v_fma_f32 v38, -0.5, v51, v5
	v_dual_sub_f32 v50, v40, v42 :: v_dual_fmac_f32 v37, 0x3e9e377a, v44
	v_fmac_f32_e32 v4, 0x3f167918, v47
	v_add_f32_e32 v44, v88, v48
	v_sub_f32_e32 v47, v88, v45
	v_sub_f32_e32 v51, v48, v77
	v_dual_add_f32 v41, v41, v42 :: v_dual_add_f32 v42, v46, v77
	v_fmamk_f32 v40, v50, 0x3f737871, v38
	v_sub_f32_e32 v46, v89, v91
	v_fma_f32 v5, -0.5, v44, v5
	v_dual_add_f32 v47, v47, v51 :: v_dual_fmac_f32 v38, 0xbf737871, v50
	v_add_f32_e32 v51, v6, v81
	v_fmac_f32_e32 v43, 0x3e9e377a, v49
	v_fmac_f32_e32 v4, 0x3e9e377a, v49
	v_add_f32_e32 v42, v42, v48
	v_fmac_f32_e32 v40, 0x3f167918, v46
	v_dual_fmamk_f32 v44, v46, 0xbf737871, v5 :: v_dual_sub_f32 v45, v45, v88
	v_sub_f32_e32 v48, v77, v48
	v_dual_add_f32 v49, v52, v76 :: v_dual_fmac_f32 v38, 0xbf167918, v46
	v_dual_fmac_f32 v5, 0x3f737871, v46 :: v_dual_add_f32 v46, v51, v52
	s_delay_alu instid0(VALU_DEP_4) | instskip(NEXT) | instid1(VALU_DEP_4)
	v_fmac_f32_e32 v44, 0x3f167918, v50
	v_add_f32_e32 v48, v45, v48
	s_delay_alu instid0(VALU_DEP_4)
	v_fma_f32 v45, -0.5, v49, v6
	v_sub_f32_e32 v54, v53, v57
	v_sub_f32_e32 v49, v81, v52
	;; [unrolled: 1-line block ×3, first 2 shown]
	v_dual_add_f32 v58, v81, v73 :: v_dual_fmac_f32 v5, 0xbf167918, v50
	v_add_f32_e32 v46, v46, v76
	v_fmac_f32_e32 v40, 0x3e9e377a, v47
	v_fmac_f32_e32 v38, 0x3e9e377a, v47
	;; [unrolled: 1-line block ×3, first 2 shown]
	v_fmamk_f32 v47, v54, 0xbf737871, v45
	v_dual_sub_f32 v55, v78, v56 :: v_dual_add_f32 v50, v49, v51
	v_fma_f32 v6, -0.5, v58, v6
	v_fmac_f32_e32 v5, 0x3e9e377a, v48
	v_add_f32_e32 v49, v46, v73
	v_dual_fmac_f32 v45, 0x3f737871, v54 :: v_dual_sub_f32 v46, v52, v81
	v_sub_f32_e32 v48, v76, v73
	v_dual_add_f32 v58, v7, v53 :: v_dual_add_f32 v59, v78, v56
	v_fmac_f32_e32 v47, 0xbf167918, v55
	v_fmamk_f32 v51, v55, 0x3f737871, v6
	s_delay_alu instid0(VALU_DEP_4)
	v_dual_fmac_f32 v45, 0x3f167918, v55 :: v_dual_add_f32 v60, v46, v48
	v_fmac_f32_e32 v6, 0xbf737871, v55
	v_add_f32_e32 v48, v58, v78
	v_fma_f32 v46, -0.5, v59, v7
	v_sub_f32_e32 v55, v81, v73
	v_fmac_f32_e32 v47, 0x3e9e377a, v50
	s_delay_alu instid0(VALU_DEP_4) | instskip(SKIP_1) | instid1(VALU_DEP_4)
	v_dual_fmac_f32 v45, 0x3e9e377a, v50 :: v_dual_add_f32 v50, v48, v56
	v_sub_f32_e32 v58, v52, v76
	v_fmamk_f32 v48, v55, 0x3f737871, v46
	ds_store_2addr_b64 v227, v[16:17], v[12:13] offset1:55
	ds_store_2addr_b64 v227, v[14:15], v[8:9] offset0:110 offset1:165
	ds_store_2addr_b64 v129, v[2:3], v[33:34] offset0:92 offset1:147
	s_clause 0x2
	scratch_load_b32 v13, off, off offset:176 th:TH_LOAD_LU
	scratch_load_b32 v12, off, off offset:172 th:TH_LOAD_LU
	;; [unrolled: 1-line block ×3, first 2 shown]
	v_fmac_f32_e32 v51, 0xbf167918, v54
	v_fmac_f32_e32 v6, 0x3f167918, v54
	v_add_f32_e32 v54, v53, v57
	v_sub_f32_e32 v52, v53, v78
	v_dual_sub_f32 v59, v57, v56 :: v_dual_add_f32 v50, v50, v57
	s_delay_alu instid0(VALU_DEP_3)
	v_dual_fmac_f32 v46, 0xbf737871, v55 :: v_dual_fmac_f32 v7, -0.5, v54
	v_sub_f32_e32 v53, v78, v53
	v_sub_f32_e32 v56, v56, v57
	v_add_f32_e32 v57, v20, v23
	v_fmac_f32_e32 v51, 0x3e9e377a, v60
	v_fmac_f32_e32 v6, 0x3e9e377a, v60
	;; [unrolled: 1-line block ×3, first 2 shown]
	v_add_f32_e32 v54, v52, v59
	v_fmamk_f32 v52, v58, 0xbf737871, v7
	v_fmac_f32_e32 v46, 0xbf167918, v58
	v_dual_add_f32 v56, v53, v56 :: v_dual_fmac_f32 v7, 0x3f737871, v58
	v_add_f32_e32 v58, v0, v21
	v_fma_f32 v53, -0.5, v57, v0
	v_sub_f32_e32 v60, v18, v28
	v_fmac_f32_e32 v48, 0x3e9e377a, v54
	v_fmac_f32_e32 v52, 0x3f167918, v55
	;; [unrolled: 1-line block ×3, first 2 shown]
	v_dual_fmac_f32 v7, 0xbf167918, v55 :: v_dual_add_f32 v54, v58, v20
	v_dual_fmamk_f32 v55, v60, 0xbf737871, v53 :: v_dual_sub_f32 v58, v19, v22
	v_sub_f32_e32 v57, v21, v20
	v_sub_f32_e32 v59, v65, v23
	v_fmac_f32_e32 v53, 0x3f737871, v60
	v_add_f32_e32 v61, v21, v65
	v_dual_fmac_f32 v55, 0xbf167918, v58 :: v_dual_add_f32 v54, v54, v23
	s_delay_alu instid0(VALU_DEP_4) | instskip(NEXT) | instid1(VALU_DEP_4)
	v_add_f32_e32 v59, v57, v59
	v_fmac_f32_e32 v53, 0x3f167918, v58
	s_delay_alu instid0(VALU_DEP_4)
	v_fma_f32 v0, -0.5, v61, v0
	v_fmac_f32_e32 v52, 0x3e9e377a, v56
	v_fmac_f32_e32 v7, 0x3e9e377a, v56
	;; [unrolled: 1-line block ×4, first 2 shown]
	v_fmamk_f32 v59, v58, 0x3f737871, v0
	v_dual_fmac_f32 v0, 0xbf737871, v58 :: v_dual_add_f32 v57, v54, v65
	v_add_f32_e32 v54, v19, v22
	v_sub_f32_e32 v56, v20, v21
	v_dual_sub_f32 v61, v23, v65 :: v_dual_add_f32 v58, v1, v18
	v_fmac_f32_e32 v59, 0xbf167918, v60
	v_fmac_f32_e32 v0, 0x3f167918, v60
	v_add_f32_e32 v60, v18, v28
	v_fma_f32 v54, -0.5, v54, v1
	v_sub_f32_e32 v21, v21, v65
	v_dual_add_f32 v61, v56, v61 :: v_dual_add_f32 v58, v58, v19
	s_delay_alu instid0(VALU_DEP_4) | instskip(NEXT) | instid1(VALU_DEP_3)
	v_dual_sub_f32 v20, v20, v23 :: v_dual_fmac_f32 v1, -0.5, v60
	v_fmamk_f32 v56, v21, 0x3f737871, v54
	s_delay_alu instid0(VALU_DEP_3) | instskip(NEXT) | instid1(VALU_DEP_4)
	v_fmac_f32_e32 v59, 0x3e9e377a, v61
	v_dual_fmac_f32 v0, 0x3e9e377a, v61 :: v_dual_add_f32 v23, v58, v22
	v_dual_sub_f32 v58, v18, v19 :: v_dual_sub_f32 v61, v28, v22
	v_fmamk_f32 v60, v20, 0xbf737871, v1
	v_dual_sub_f32 v18, v19, v18 :: v_dual_sub_f32 v19, v22, v28
	v_fmac_f32_e32 v1, 0x3f737871, v20
	v_fmac_f32_e32 v54, 0xbf737871, v21
	;; [unrolled: 1-line block ×3, first 2 shown]
	v_add_f32_e32 v22, v58, v61
	s_delay_alu instid0(VALU_DEP_4) | instskip(NEXT) | instid1(VALU_DEP_4)
	v_dual_add_f32 v18, v18, v19 :: v_dual_fmac_f32 v1, 0xbf167918, v21
	v_fmac_f32_e32 v54, 0xbf167918, v20
	v_fmac_f32_e32 v60, 0x3f167918, v21
	v_add_f32_e32 v58, v23, v28
	v_fmac_f32_e32 v56, 0x3e9e377a, v22
	v_fmac_f32_e32 v1, 0x3e9e377a, v18
	;; [unrolled: 1-line block ×4, first 2 shown]
	ds_store_2addr_b64 v27, v[31:32], v[35:36] offset0:74 offset1:129
	ds_store_2addr_b64 v27, v[10:11], v[29:30] offset0:184 offset1:239
	s_wait_loadcnt 0x2
	v_add_nc_u32_e32 v2, 0x1000, v13
	s_wait_loadcnt 0x1
	v_add_nc_u32_e32 v3, 0x1800, v12
	s_wait_loadcnt 0x0
	v_add_nc_u32_e32 v8, 0x2000, v9
	ds_store_2addr_b64 v2, v[41:42], v[39:40] offset0:38 offset1:93
	ds_store_2addr_b64 v2, v[43:44], v[4:5] offset0:148 offset1:203
	;; [unrolled: 1-line block ×6, first 2 shown]
	ds_store_b64 v13, v[37:38] offset:6160
	ds_store_b64 v12, v[45:46] offset:8360
	;; [unrolled: 1-line block ×3, first 2 shown]
	global_wb scope:SCOPE_SE
	s_wait_dscnt 0x0
	s_barrier_signal -1
	s_barrier_wait -1
	global_inv scope:SCOPE_SE
	ds_load_2addr_b64 v[0:3], v129 offset0:92 offset1:147
	ds_load_2addr_b64 v[12:15], v26 offset0:38 offset1:93
	;; [unrolled: 1-line block ×3, first 2 shown]
	ds_load_2addr_b64 v[8:11], v227 offset1:55
	ds_load_2addr_b64 v[20:23], v24 offset0:76 offset1:131
	ds_load_2addr_b64 v[28:31], v27 offset0:74 offset1:129
	;; [unrolled: 1-line block ×8, first 2 shown]
	ds_load_b64 v[52:53], v227 offset:10560
	s_wait_dscnt 0xc
	v_mul_f32_e32 v54, v85, v3
	s_wait_dscnt 0xa
	v_dual_mul_f32 v56, v87, v12 :: v_dual_mul_f32 v57, v109, v19
	v_mul_f32_e32 v58, v109, v18
	s_delay_alu instid0(VALU_DEP_3)
	v_fmac_f32_e32 v54, v84, v2
	v_mul_f32_e32 v2, v85, v2
	s_wait_dscnt 0x7
	v_mul_f32_e32 v60, v93, v29
	s_wait_dscnt 0x4
	v_dual_mul_f32 v64, v97, v33 :: v_dual_mul_f32 v79, v127, v39
	v_mul_f32_e32 v71, v101, v35
	v_fma_f32 v59, v84, v3, -v2
	v_mul_f32_e32 v2, v111, v20
	v_dual_fmac_f32 v60, v92, v28 :: v_dual_mul_f32 v65, v99, v23
	v_dual_fmac_f32 v64, v96, v32 :: v_dual_mul_f32 v61, v95, v15
	s_delay_alu instid0(VALU_DEP_3) | instskip(SKIP_1) | instid1(VALU_DEP_4)
	v_fma_f32 v62, v110, v21, -v2
	v_mul_f32_e32 v2, v95, v14
	v_fmac_f32_e32 v65, v98, v22
	v_mul_f32_e32 v3, v93, v28
	s_wait_dscnt 0x3
	v_dual_fmac_f32 v79, v126, v38 :: v_dual_mul_f32 v74, v103, v41
	v_fma_f32 v66, v94, v15, -v2
	v_mul_f32_e32 v2, v105, v30
	v_sub_f32_e32 v15, v59, v62
	v_mul_f32_e32 v55, v87, v13
	v_mul_f32_e32 v70, v107, v37
	v_fmac_f32_e32 v74, v102, v40
	v_fma_f32 v72, v104, v31, -v2
	v_mul_f32_e32 v2, v101, v34
	v_fma_f32 v56, v86, v13, -v56
	v_dual_fmac_f32 v70, v106, v36 :: v_dual_fmac_f32 v71, v100, v34
	v_fma_f32 v58, v108, v19, -v58
	s_delay_alu instid0(VALU_DEP_4)
	v_fma_f32 v76, v100, v35, -v2
	v_mul_f32_e32 v2, v127, v38
	v_add_f32_e32 v38, v60, v65
	v_fma_f32 v63, v92, v29, -v3
	v_mul_f32_e32 v3, v97, v32
	v_fmac_f32_e32 v61, v94, v14
	v_add_f32_e32 v35, v10, v60
	v_dual_fmac_f32 v55, v86, v12 :: v_dual_mul_f32 v12, v99, v22
	s_delay_alu instid0(VALU_DEP_4)
	v_fma_f32 v67, v96, v33, -v3
	v_mul_f32_e32 v3, v107, v36
	s_wait_dscnt 0x2
	v_mul_f32_e32 v75, v125, v45
	v_mul_f32_e32 v13, v111, v21
	v_fma_f32 v68, v98, v23, -v12
	v_sub_f32_e32 v36, v66, v67
	v_fma_f32 v73, v106, v37, -v3
	v_mul_f32_e32 v3, v103, v40
	v_mul_f32_e32 v12, v125, v44
	v_sub_f32_e32 v40, v63, v66
	v_fmac_f32_e32 v57, v108, v18
	v_mul_f32_e32 v69, v105, v31
	v_fma_f32 v77, v102, v41, -v3
	v_sub_f32_e32 v41, v68, v67
	s_wait_dscnt 0x1
	v_mul_f32_e32 v3, v117, v48
	v_fma_f32 v78, v124, v45, -v12
	v_mul_f32_e32 v12, v123, v16
	v_fma_f32 v82, v126, v39, -v2
	v_add_f32_e32 v40, v40, v41
	v_fma_f32 v83, v116, v49, -v3
	v_mul_f32_e32 v3, v121, v46
	v_mul_f32_e32 v2, v119, v42
	v_fma_f32 v19, v122, v17, -v12
	v_dual_add_f32 v12, v8, v54 :: v_dual_sub_f32 v37, v65, v64
	v_dual_fmac_f32 v13, v110, v20 :: v_dual_mul_f32 v20, v123, v17
	v_fma_f32 v18, v120, v47, -v3
	v_mul_f32_e32 v3, v113, v50
	v_fmac_f32_e32 v69, v104, v30
	v_fma_f32 v84, v118, v43, -v2
	v_fmac_f32_e32 v20, v122, v16
	v_add_f32_e32 v2, v55, v57
	v_fma_f32 v22, v112, v51, -v3
	v_add_f32_e32 v3, v12, v55
	v_sub_f32_e32 v14, v54, v55
	v_sub_f32_e32 v16, v13, v57
	v_add_f32_e32 v28, v54, v13
	v_fma_f32 v2, -0.5, v2, v8
	v_sub_f32_e32 v17, v56, v58
	s_wait_dscnt 0x0
	v_mul_f32_e32 v29, v115, v52
	v_dual_add_f32 v3, v3, v57 :: v_dual_add_f32 v30, v14, v16
	v_fma_f32 v14, -0.5, v28, v8
	v_fmamk_f32 v12, v15, 0xbf737871, v2
	s_delay_alu instid0(VALU_DEP_4) | instskip(NEXT) | instid1(VALU_DEP_4)
	v_fma_f32 v28, v114, v53, -v29
	v_add_f32_e32 v8, v3, v13
	v_fmac_f32_e32 v2, 0x3f737871, v15
	v_dual_fmamk_f32 v16, v17, 0x3f737871, v14 :: v_dual_sub_f32 v3, v55, v54
	v_sub_f32_e32 v29, v57, v13
	v_dual_add_f32 v31, v9, v59 :: v_dual_fmac_f32 v14, 0xbf737871, v17
	v_mul_f32_e32 v80, v117, v49
	v_fmac_f32_e32 v12, 0xbf167918, v17
	v_fmac_f32_e32 v2, 0x3f167918, v17
	v_add_f32_e32 v32, v56, v58
	v_dual_fmac_f32 v16, 0xbf167918, v15 :: v_dual_add_f32 v29, v3, v29
	v_dual_add_f32 v17, v31, v56 :: v_dual_fmac_f32 v14, 0x3f167918, v15
	v_sub_f32_e32 v31, v59, v56
	v_dual_sub_f32 v33, v62, v58 :: v_dual_fmac_f32 v80, v116, v48
	v_fma_f32 v3, -0.5, v32, v9
	v_sub_f32_e32 v32, v54, v13
	v_dual_fmac_f32 v16, 0x3e9e377a, v29 :: v_dual_add_f32 v15, v59, v62
	v_dual_fmac_f32 v14, 0x3e9e377a, v29 :: v_dual_sub_f32 v29, v56, v59
	v_add_f32_e32 v34, v61, v64
	v_sub_f32_e32 v48, v72, v73
	v_add_f32_e32 v31, v31, v33
	v_sub_f32_e32 v33, v58, v62
	v_fmac_f32_e32 v12, 0x3e9e377a, v30
	v_fmac_f32_e32 v2, 0x3e9e377a, v30
	v_add_f32_e32 v17, v17, v58
	v_fmamk_f32 v13, v32, 0x3f737871, v3
	v_fma_f32 v15, -0.5, v15, v9
	v_fmac_f32_e32 v3, 0xbf737871, v32
	v_add_f32_e32 v33, v29, v33
	v_fma_f32 v29, -0.5, v34, v10
	v_sub_f32_e32 v34, v63, v68
	v_dual_sub_f32 v30, v55, v57 :: v_dual_add_f32 v9, v17, v62
	v_fma_f32 v10, -0.5, v38, v10
	v_dual_add_f32 v38, v11, v63 :: v_dual_sub_f32 v49, v77, v76
	s_delay_alu instid0(VALU_DEP_3) | instskip(SKIP_4) | instid1(VALU_DEP_4)
	v_fmac_f32_e32 v13, 0x3f167918, v30
	v_fmamk_f32 v17, v30, 0xbf737871, v15
	v_fmac_f32_e32 v3, 0xbf167918, v30
	v_dual_fmac_f32 v15, 0x3f737871, v30 :: v_dual_add_f32 v30, v35, v61
	v_sub_f32_e32 v35, v60, v61
	v_fmac_f32_e32 v17, 0x3f167918, v32
	s_delay_alu instid0(VALU_DEP_4) | instskip(NEXT) | instid1(VALU_DEP_4)
	v_fmac_f32_e32 v3, 0x3e9e377a, v31
	v_fmac_f32_e32 v15, 0xbf167918, v32
	v_add_f32_e32 v30, v30, v64
	v_add_f32_e32 v32, v35, v37
	v_fmac_f32_e32 v17, 0x3e9e377a, v33
	v_fmamk_f32 v35, v36, 0x3f737871, v10
	v_fmac_f32_e32 v15, 0x3e9e377a, v33
	v_dual_add_f32 v39, v66, v67 :: v_dual_fmac_f32 v10, 0xbf737871, v36
	v_dual_add_f32 v33, v30, v65 :: v_dual_sub_f32 v30, v61, v60
	v_sub_f32_e32 v37, v64, v65
	v_dual_add_f32 v48, v48, v49 :: v_dual_fmac_f32 v13, 0x3e9e377a, v31
	v_fmamk_f32 v31, v34, 0xbf737871, v29
	v_fmac_f32_e32 v29, 0x3f737871, v34
	s_delay_alu instid0(VALU_DEP_4)
	v_add_f32_e32 v37, v30, v37
	v_fma_f32 v30, -0.5, v39, v11
	v_fmac_f32_e32 v35, 0xbf167918, v34
	v_fmac_f32_e32 v31, 0xbf167918, v36
	v_dual_fmac_f32 v29, 0x3f167918, v36 :: v_dual_add_f32 v36, v38, v66
	v_dual_sub_f32 v38, v60, v65 :: v_dual_mul_f32 v81, v119, v43
	s_delay_alu instid0(VALU_DEP_3) | instskip(SKIP_1) | instid1(VALU_DEP_4)
	v_dual_fmac_f32 v31, 0x3e9e377a, v32 :: v_dual_sub_f32 v56, v78, v82
	v_fmac_f32_e32 v10, 0x3f167918, v34
	v_add_f32_e32 v34, v36, v67
	v_add_f32_e32 v36, v63, v68
	v_sub_f32_e32 v39, v61, v64
	v_sub_f32_e32 v57, v84, v83
	v_fmac_f32_e32 v29, 0x3e9e377a, v32
	v_fmamk_f32 v32, v38, 0x3f737871, v30
	v_dual_fmac_f32 v30, 0xbf737871, v38 :: v_dual_fmac_f32 v75, v124, v44
	v_fmac_f32_e32 v81, v118, v42
	v_dual_mul_f32 v85, v115, v53 :: v_dual_sub_f32 v44, v73, v76
	v_fmac_f32_e32 v11, -0.5, v36
	v_mul_f32_e32 v21, v121, v47
	v_fmac_f32_e32 v32, 0x3f167918, v39
	v_dual_fmac_f32 v30, 0xbf167918, v39 :: v_dual_add_f32 v43, v4, v69
	v_dual_fmac_f32 v85, v114, v52 :: v_dual_fmac_f32 v10, 0x3e9e377a, v37
	v_fmamk_f32 v36, v39, 0xbf737871, v11
	s_delay_alu instid0(VALU_DEP_3) | instskip(SKIP_1) | instid1(VALU_DEP_3)
	v_dual_fmac_f32 v21, v120, v46 :: v_dual_fmac_f32 v30, 0x3e9e377a, v40
	v_dual_mul_f32 v23, v113, v51 :: v_dual_fmac_f32 v32, 0x3e9e377a, v40
	v_fmac_f32_e32 v36, 0x3f167918, v38
	v_dual_fmac_f32 v11, 0x3f737871, v39 :: v_dual_add_f32 v40, v43, v70
	v_sub_f32_e32 v43, v69, v70
	v_sub_f32_e32 v45, v74, v71
	v_dual_fmac_f32 v23, v112, v50 :: v_dual_add_f32 v42, v70, v71
	s_delay_alu instid0(VALU_DEP_4) | instskip(NEXT) | instid1(VALU_DEP_3)
	v_dual_fmac_f32 v11, 0xbf167918, v38 :: v_dual_add_f32 v38, v40, v71
	v_add_f32_e32 v40, v43, v45
	s_delay_alu instid0(VALU_DEP_3)
	v_dual_sub_f32 v41, v67, v68 :: v_dual_add_f32 v58, v20, v23
	v_add_f32_e32 v56, v56, v57
	v_fmac_f32_e32 v35, 0x3e9e377a, v37
	v_dual_sub_f32 v37, v66, v63 :: v_dual_add_f32 v46, v69, v74
	v_sub_f32_e32 v59, v21, v20
	v_dual_sub_f32 v60, v85, v23 :: v_dual_sub_f32 v45, v71, v74
	s_delay_alu instid0(VALU_DEP_3)
	v_add_f32_e32 v41, v37, v41
	v_fma_f32 v37, -0.5, v42, v4
	v_sub_f32_e32 v42, v72, v77
	v_fma_f32 v4, -0.5, v46, v4
	v_add_f32_e32 v46, v5, v72
	v_fmac_f32_e32 v36, 0x3e9e377a, v41
	v_fmac_f32_e32 v11, 0x3e9e377a, v41
	v_fmamk_f32 v39, v42, 0xbf737871, v37
	v_add_f32_e32 v41, v38, v74
	v_dual_sub_f32 v38, v70, v69 :: v_dual_add_f32 v47, v73, v76
	v_add_f32_e32 v59, v59, v60
	s_delay_alu instid0(VALU_DEP_4) | instskip(SKIP_4) | instid1(VALU_DEP_4)
	v_dual_fmac_f32 v39, 0xbf167918, v44 :: v_dual_sub_f32 v60, v20, v21
	v_fmac_f32_e32 v37, 0x3f737871, v42
	v_fmamk_f32 v43, v44, 0x3f737871, v4
	v_dual_add_f32 v45, v38, v45 :: v_dual_fmac_f32 v4, 0xbf737871, v44
	v_fma_f32 v38, -0.5, v47, v5
	v_dual_fmac_f32 v37, 0x3f167918, v44 :: v_dual_add_f32 v44, v46, v73
	v_dual_sub_f32 v46, v69, v74 :: v_dual_fmac_f32 v39, 0x3e9e377a, v40
	v_fmac_f32_e32 v43, 0xbf167918, v42
	s_delay_alu instid0(VALU_DEP_3)
	v_fmac_f32_e32 v37, 0x3e9e377a, v40
	v_fmac_f32_e32 v4, 0x3f167918, v42
	v_add_f32_e32 v42, v44, v76
	v_fmamk_f32 v40, v46, 0x3f737871, v38
	v_dual_add_f32 v44, v72, v77 :: v_dual_sub_f32 v47, v70, v71
	v_fmac_f32_e32 v38, 0xbf737871, v46
	v_fmac_f32_e32 v43, 0x3e9e377a, v45
	;; [unrolled: 1-line block ×3, first 2 shown]
	s_delay_alu instid0(VALU_DEP_4) | instskip(SKIP_3) | instid1(VALU_DEP_4)
	v_fma_f32 v5, -0.5, v44, v5
	v_dual_fmac_f32 v40, 0x3f167918, v47 :: v_dual_sub_f32 v45, v73, v72
	v_dual_sub_f32 v49, v76, v77 :: v_dual_add_f32 v50, v79, v80
	v_fmac_f32_e32 v38, 0xbf167918, v47
	v_dual_add_f32 v51, v6, v75 :: v_dual_fmamk_f32 v44, v47, 0xbf737871, v5
	s_delay_alu instid0(VALU_DEP_3) | instskip(NEXT) | instid1(VALU_DEP_4)
	v_dual_fmac_f32 v40, 0x3e9e377a, v48 :: v_dual_add_f32 v49, v45, v49
	v_fma_f32 v45, -0.5, v50, v6
	v_sub_f32_e32 v50, v78, v84
	v_fmac_f32_e32 v38, 0x3e9e377a, v48
	v_fmac_f32_e32 v5, 0x3f737871, v47
	v_add_f32_e32 v48, v51, v79
	v_add_f32_e32 v54, v75, v81
	v_fmac_f32_e32 v44, 0x3f167918, v46
	v_fmamk_f32 v47, v50, 0xbf737871, v45
	v_sub_f32_e32 v52, v82, v83
	v_sub_f32_e32 v51, v75, v79
	;; [unrolled: 1-line block ×3, first 2 shown]
	v_dual_fmac_f32 v5, 0xbf167918, v46 :: v_dual_add_f32 v46, v48, v80
	v_fma_f32 v6, -0.5, v54, v6
	v_fmac_f32_e32 v45, 0x3f737871, v50
	v_add_f32_e32 v54, v7, v78
	v_fmac_f32_e32 v44, 0x3e9e377a, v49
	v_dual_fmac_f32 v47, 0xbf167918, v52 :: v_dual_add_f32 v48, v51, v53
	v_fmac_f32_e32 v5, 0x3e9e377a, v49
	v_dual_add_f32 v49, v46, v81 :: v_dual_add_nc_u32 v62, 0x2400, v227
	v_dual_fmamk_f32 v51, v52, 0x3f737871, v6 :: v_dual_sub_f32 v46, v79, v75
	v_sub_f32_e32 v53, v80, v81
	v_fmac_f32_e32 v45, 0x3f167918, v52
	v_dual_add_f32 v55, v82, v83 :: v_dual_fmac_f32 v6, 0xbf737871, v52
	v_add_f32_e32 v52, v54, v82
	v_fmac_f32_e32 v51, 0xbf167918, v50
	v_add_f32_e32 v53, v46, v53
	s_delay_alu instid0(VALU_DEP_4)
	v_fma_f32 v46, -0.5, v55, v7
	v_sub_f32_e32 v54, v75, v81
	v_fmac_f32_e32 v6, 0x3f167918, v50
	v_add_f32_e32 v50, v52, v83
	v_add_f32_e32 v52, v78, v84
	v_fmac_f32_e32 v47, 0x3e9e377a, v48
	v_fmac_f32_e32 v45, 0x3e9e377a, v48
	v_fmac_f32_e32 v51, 0x3e9e377a, v53
	v_dual_fmamk_f32 v48, v54, 0x3f737871, v46 :: v_dual_sub_f32 v55, v79, v80
	v_dual_fmac_f32 v6, 0x3e9e377a, v53 :: v_dual_fmac_f32 v7, -0.5, v52
	v_fmac_f32_e32 v46, 0xbf737871, v54
	v_sub_f32_e32 v53, v82, v78
	s_delay_alu instid0(VALU_DEP_4) | instskip(NEXT) | instid1(VALU_DEP_4)
	v_dual_sub_f32 v57, v83, v84 :: v_dual_fmac_f32 v48, 0x3f167918, v55
	v_fmamk_f32 v52, v55, 0xbf737871, v7
	s_delay_alu instid0(VALU_DEP_4) | instskip(SKIP_1) | instid1(VALU_DEP_4)
	v_fmac_f32_e32 v46, 0xbf167918, v55
	v_fmac_f32_e32 v7, 0x3f737871, v55
	v_add_f32_e32 v57, v53, v57
	v_add_f32_e32 v55, v0, v21
	v_fma_f32 v53, -0.5, v58, v0
	v_sub_f32_e32 v58, v18, v28
	v_fmac_f32_e32 v48, 0x3e9e377a, v56
	v_fmac_f32_e32 v52, 0x3f167918, v54
	;; [unrolled: 1-line block ×3, first 2 shown]
	v_dual_fmac_f32 v7, 0xbf167918, v54 :: v_dual_add_f32 v54, v55, v20
	v_dual_fmamk_f32 v55, v58, 0xbf737871, v53 :: v_dual_sub_f32 v56, v19, v22
	v_fmac_f32_e32 v53, 0x3f737871, v58
	s_delay_alu instid0(VALU_DEP_3) | instskip(SKIP_1) | instid1(VALU_DEP_4)
	v_dual_add_f32 v61, v21, v85 :: v_dual_add_f32 v54, v54, v23
	v_fmac_f32_e32 v52, 0x3e9e377a, v57
	v_fmac_f32_e32 v55, 0xbf167918, v56
	s_delay_alu instid0(VALU_DEP_4) | instskip(NEXT) | instid1(VALU_DEP_4)
	v_fmac_f32_e32 v53, 0x3f167918, v56
	v_fma_f32 v0, -0.5, v61, v0
	v_sub_f32_e32 v61, v23, v85
	v_fmac_f32_e32 v7, 0x3e9e377a, v57
	v_add_f32_e32 v57, v54, v85
	v_fmac_f32_e32 v55, 0x3e9e377a, v59
	v_fmac_f32_e32 v53, 0x3e9e377a, v59
	v_dual_fmamk_f32 v59, v56, 0x3f737871, v0 :: v_dual_add_f32 v54, v19, v22
	v_fmac_f32_e32 v0, 0xbf737871, v56
	v_add_f32_e32 v56, v1, v18
	v_dual_add_f32 v60, v60, v61 :: v_dual_add_f32 v61, v18, v28
	s_delay_alu instid0(VALU_DEP_4)
	v_fma_f32 v54, -0.5, v54, v1
	v_sub_f32_e32 v21, v21, v85
	v_fmac_f32_e32 v59, 0xbf167918, v58
	v_fmac_f32_e32 v0, 0x3f167918, v58
	v_add_f32_e32 v58, v56, v19
	v_dual_sub_f32 v20, v20, v23 :: v_dual_fmac_f32 v1, -0.5, v61
	v_dual_fmamk_f32 v56, v21, 0x3f737871, v54 :: v_dual_sub_f32 v61, v28, v22
	s_delay_alu instid0(VALU_DEP_3)
	v_add_f32_e32 v23, v58, v22
	v_dual_sub_f32 v58, v18, v19 :: v_dual_fmac_f32 v59, 0x3e9e377a, v60
	v_fmac_f32_e32 v0, 0x3e9e377a, v60
	v_fmamk_f32 v60, v20, 0xbf737871, v1
	v_dual_sub_f32 v18, v19, v18 :: v_dual_sub_f32 v19, v22, v28
	v_fmac_f32_e32 v1, 0x3f737871, v20
	v_fmac_f32_e32 v54, 0xbf737871, v21
	;; [unrolled: 1-line block ×3, first 2 shown]
	v_add_f32_e32 v22, v58, v61
	v_fmac_f32_e32 v60, 0x3f167918, v21
	v_dual_add_f32 v18, v18, v19 :: v_dual_fmac_f32 v1, 0xbf167918, v21
	v_fmac_f32_e32 v54, 0xbf167918, v20
	v_add_f32_e32 v42, v42, v77
	v_add_f32_e32 v50, v50, v84
	;; [unrolled: 1-line block ×4, first 2 shown]
	v_fmac_f32_e32 v56, 0x3e9e377a, v22
	v_fmac_f32_e32 v60, 0x3e9e377a, v18
	ds_store_b64 v227, v[12:13] offset:2200
	ds_store_b64 v227, v[16:17] offset:4400
	;; [unrolled: 1-line block ×4, first 2 shown]
	ds_store_2addr_b64 v227, v[8:9], v[33:34] offset1:55
	ds_store_2addr_b64 v27, v[31:32], v[39:40] offset0:74 offset1:129
	ds_store_2addr_b64 v26, v[35:36], v[43:44] offset0:93 offset1:148
	;; [unrolled: 1-line block ×4, first 2 shown]
	v_add_nc_u32_e32 v33, 0x1400, v227
	v_fmac_f32_e32 v1, 0x3e9e377a, v18
	v_fmac_f32_e32 v54, 0x3e9e377a, v22
	ds_store_2addr_b64 v227, v[41:42], v[49:50] offset0:110 offset1:165
	ds_store_b64 v227, v[57:58] offset:1760
	ds_store_2addr_b64 v27, v[47:48], v[55:56] offset0:184 offset1:239
	ds_store_2addr_b64 v33, v[51:52], v[59:60] offset0:75 offset1:130
	;; [unrolled: 1-line block ×4, first 2 shown]
	global_wb scope:SCOPE_SE
	s_wait_dscnt 0x0
	s_barrier_signal -1
	s_barrier_wait -1
	global_inv scope:SCOPE_SE
	ds_load_2addr_b64 v[2:5], v227 offset1:55
	ds_load_2addr_b64 v[6:9], v227 offset0:125 offset1:180
	ds_load_2addr_b64 v[10:13], v129 offset0:122 offset1:177
	;; [unrolled: 1-line block ×3, first 2 shown]
	s_clause 0x1
	scratch_load_b64 v[37:38], off, off offset:140 th:TH_LOAD_LU
	scratch_load_b64 v[74:75], off, off offset:132 th:TH_LOAD_LU
	v_add_nc_u32_e32 v18, 0xc00, v227
	ds_load_2addr_b64 v[28:31], v26 offset0:113 offset1:168
	s_clause 0x3
	scratch_load_b64 v[64:65], off, off offset:116 th:TH_LOAD_LU
	scratch_load_b64 v[70:71], off, off offset:124 th:TH_LOAD_LU
	scratch_load_b32 v39, off, off offset:88 th:TH_LOAD_LU
	scratch_load_b64 v[72:73], off, off offset:100 th:TH_LOAD_LU
	ds_load_2addr_b64 v[18:21], v18 offset0:116 offset1:171
	scratch_load_b64 v[68:69], off, off offset:108 th:TH_LOAD_LU ; 8-byte Folded Reload
	s_wait_dscnt 0x4
	v_mul_f32_e32 v22, v218, v7
	s_wait_dscnt 0x3
	v_mul_f32_e32 v32, v216, v11
	v_mul_f32_e32 v34, v216, v10
	;; [unrolled: 1-line block ×4, first 2 shown]
	s_wait_dscnt 0x2
	v_dual_mul_f32 v35, v220, v15 :: v_dual_fmac_f32 v32, v215, v10
	v_fma_f32 v34, v215, v11, -v34
	s_wait_dscnt 0x1
	v_mul_f32_e32 v36, v222, v28
	v_fmac_f32_e32 v0, v223, v2
	v_fma_f32 v2, v223, v3, -v1
	v_cvt_f64_f32_e32 v[10:11], v32
	v_cvt_f64_f32_e32 v[44:45], v34
	v_fmac_f32_e32 v35, v219, v14
	v_cvt_f64_f32_e32 v[0:1], v0
	v_cvt_f64_f32_e32 v[2:3], v2
	v_mul_f32_e32 v23, v218, v6
	v_mul_f32_e32 v14, v220, v14
	v_cvt_f64_f32_e32 v[46:47], v35
	v_dual_mul_f32 v35, v222, v29 :: v_dual_fmac_f32 v22, v217, v6
	s_delay_alu instid0(VALU_DEP_4) | instskip(NEXT) | instid1(VALU_DEP_4)
	v_fma_f32 v23, v217, v7, -v23
	v_fma_f32 v14, v219, v15, -v14
	s_delay_alu instid0(VALU_DEP_3) | instskip(NEXT) | instid1(VALU_DEP_4)
	v_fmac_f32_e32 v35, v221, v28
	v_cvt_f64_f32_e32 v[6:7], v22
	s_delay_alu instid0(VALU_DEP_4) | instskip(NEXT) | instid1(VALU_DEP_4)
	v_cvt_f64_f32_e32 v[22:23], v23
	v_cvt_f64_f32_e32 v[14:15], v14
	s_delay_alu instid0(VALU_DEP_4)
	v_cvt_f64_f32_e32 v[50:51], v35
	s_wait_alu 0xfffe
	v_mul_f64_e32 v[10:11], s[2:3], v[10:11]
	v_mul_f64_e32 v[56:57], s[2:3], v[44:45]
	;; [unrolled: 1-line block ×5, first 2 shown]
	ds_load_2addr_b64 v[44:47], v24 offset0:101 offset1:156
	v_mul_f64_e32 v[6:7], s[2:3], v[6:7]
	v_mul_f64_e32 v[22:23], s[2:3], v[22:23]
	;; [unrolled: 1-line block ×4, first 2 shown]
	v_cvt_f32_f64_e32 v10, v[10:11]
	v_cvt_f32_f64_e32 v11, v[56:57]
	;; [unrolled: 1-line block ×8, first 2 shown]
	s_wait_loadcnt_dscnt 0x601
	v_mul_f32_e32 v32, v38, v19
	v_mul_f32_e32 v34, v38, v18
	s_delay_alu instid0(VALU_DEP_2) | instskip(NEXT) | instid1(VALU_DEP_2)
	v_fmac_f32_e32 v32, v37, v18
	v_fma_f32 v34, v37, v19, -v34
	s_wait_loadcnt 0x2
	v_mad_co_u64_u32 v[54:55], null, s4, v39, 0
	s_delay_alu instid0(VALU_DEP_3)
	v_cvt_f64_f32_e32 v[18:19], v32
	v_fma_f32 v32, v221, v29, -v36
	scratch_load_b64 v[36:37], off, off offset:72 th:TH_LOAD_LU ; 8-byte Folded Reload
	v_cvt_f64_f32_e32 v[28:29], v34
	v_cvt_f64_f32_e32 v[52:53], v32
	v_mul_f64_e32 v[18:19], s[2:3], v[18:19]
	s_delay_alu instid0(VALU_DEP_3) | instskip(NEXT) | instid1(VALU_DEP_3)
	v_mul_f64_e32 v[28:29], s[2:3], v[28:29]
	v_mul_f64_e32 v[52:53], s[2:3], v[52:53]
	s_delay_alu instid0(VALU_DEP_3) | instskip(SKIP_1) | instid1(VALU_DEP_4)
	v_cvt_f32_f64_e32 v14, v[18:19]
	v_cvt_f32_f64_e32 v18, v[60:61]
	;; [unrolled: 1-line block ×3, first 2 shown]
	s_delay_alu instid0(VALU_DEP_4) | instskip(SKIP_3) | instid1(VALU_DEP_2)
	v_cvt_f32_f64_e32 v19, v[52:53]
	s_wait_loadcnt 0x0
	v_mov_b32_e32 v34, v36
	v_mov_b32_e32 v36, v55
	v_mad_co_u64_u32 v[48:49], null, s6, v34, 0
	s_delay_alu instid0(VALU_DEP_1) | instskip(NEXT) | instid1(VALU_DEP_1)
	v_mov_b32_e32 v32, v49
	v_mad_co_u64_u32 v[37:38], null, s7, v34, v[32:33]
	ds_load_2addr_b64 v[32:35], v33 offset0:110 offset1:165
	v_mad_co_u64_u32 v[40:41], null, s5, v39, v[36:37]
	v_mov_b32_e32 v49, v37
	ds_load_2addr_b64 v[36:39], v25 offset0:107 offset1:162
	v_lshlrev_b64_e32 v[2:3], 3, v[48:49]
	v_mov_b32_e32 v55, v40
	ds_load_2addr_b64 v[40:43], v128 offset0:104 offset1:159
	v_add_co_u32 v2, s0, s10, v2
	s_wait_dscnt 0x2
	v_mul_f32_e32 v63, v65, v33
	v_mul_f32_e32 v48, v65, v32
	s_wait_alu 0xf1ff
	v_add_co_ci_u32_e64 v3, s0, s11, v3, s0
	s_delay_alu instid0(VALU_DEP_3) | instskip(NEXT) | instid1(VALU_DEP_3)
	v_fmac_f32_e32 v63, v64, v32
	v_fma_f32 v64, v64, v33, -v48
	ds_load_2addr_b64 v[48:51], v62 offset0:98 offset1:153
	s_wait_dscnt 0x2
	v_mul_f32_e32 v65, v71, v37
	v_mul_f32_e32 v66, v71, v36
	v_cvt_f64_f32_e32 v[32:33], v63
	v_cvt_f64_f32_e32 v[62:63], v64
	s_delay_alu instid0(VALU_DEP_4) | instskip(NEXT) | instid1(VALU_DEP_4)
	v_fmac_f32_e32 v65, v70, v36
	v_fma_f32 v64, v70, v37, -v66
	s_wait_dscnt 0x1
	v_mul_f32_e32 v67, v69, v41
	s_delay_alu instid0(VALU_DEP_3) | instskip(NEXT) | instid1(VALU_DEP_3)
	v_cvt_f64_f32_e32 v[36:37], v65
	v_cvt_f64_f32_e32 v[64:65], v64
	s_delay_alu instid0(VALU_DEP_3) | instskip(SKIP_2) | instid1(VALU_DEP_3)
	v_fmac_f32_e32 v67, v68, v40
	v_mul_f32_e32 v40, v69, v40
	v_mul_f32_e32 v69, v75, v44
	v_cvt_f64_f32_e32 v[66:67], v67
	s_delay_alu instid0(VALU_DEP_3)
	v_fma_f32 v40, v68, v41, -v40
	v_mul_f32_e32 v68, v75, v45
	s_wait_dscnt 0x0
	v_mul_f32_e32 v70, v73, v49
	v_mul_f32_e32 v71, v73, v48
	v_fma_f32 v69, v74, v45, -v69
	v_cvt_f64_f32_e32 v[40:41], v40
	v_fmac_f32_e32 v68, v74, v44
	v_fmac_f32_e32 v70, v72, v48
	v_fma_f32 v71, v72, v49, -v71
	scratch_load_b64 v[73:74], off, off offset:92 th:TH_LOAD_LU ; 8-byte Folded Reload
	v_lshlrev_b64_e32 v[44:45], 3, v[54:55]
	v_cvt_f64_f32_e32 v[48:49], v68
	v_cvt_f64_f32_e32 v[54:55], v69
	;; [unrolled: 1-line block ×4, first 2 shown]
	v_add_co_u32 v44, s0, v2, v44
	s_wait_alu 0xf1ff
	v_add_co_ci_u32_e64 v45, s0, v3, v45, s0
	s_mul_u64 s[0:1], s[4:5], 0x7d
	s_wait_alu 0xfffe
	s_lshl_b64 s[6:7], s[0:1], 3
	v_mul_f64_e32 v[28:29], s[2:3], v[32:33]
	s_wait_alu 0xfffe
	v_add_co_u32 v52, s0, v44, s6
	s_wait_alu 0xf1ff
	v_add_co_ci_u32_e64 v53, s0, s7, v45, s0
	v_mul_f64_e32 v[32:33], s[2:3], v[62:63]
	s_delay_alu instid0(VALU_DEP_3) | instskip(SKIP_3) | instid1(VALU_DEP_3)
	v_add_co_u32 v58, s0, v52, s6
	v_mul_f64_e32 v[56:57], s[2:3], v[64:65]
	s_wait_alu 0xf1ff
	v_add_co_ci_u32_e64 v59, s0, s7, v53, s0
	v_add_co_u32 v62, s0, v58, s6
	global_store_b64 v[44:45], v[0:1], off
	s_wait_alu 0xf1ff
	v_add_co_ci_u32_e64 v63, s0, s7, v59, s0
	v_mul_f64_e32 v[60:61], s[2:3], v[66:67]
	v_mul_f64_e32 v[36:37], s[2:3], v[36:37]
	;; [unrolled: 1-line block ×7, first 2 shown]
	v_add_co_u32 v70, s0, v62, s6
	s_wait_alu 0xf1ff
	v_add_co_ci_u32_e64 v71, s0, s7, v63, s0
	s_delay_alu instid0(VALU_DEP_2) | instskip(SKIP_1) | instid1(VALU_DEP_2)
	v_add_co_u32 v0, s0, v70, s6
	s_wait_alu 0xf1ff
	v_add_co_ci_u32_e64 v1, s0, s7, v71, s0
	s_clause 0x3
	global_store_b64 v[52:53], v[6:7], off
	global_store_b64 v[58:59], v[10:11], off
	;; [unrolled: 1-line block ×5, first 2 shown]
	scratch_load_b64 v[52:53], off, off offset:40 th:TH_LOAD_LU ; 8-byte Folded Reload
	v_cvt_f32_f64_e32 v6, v[28:29]
	v_add_co_u32 v0, s0, v0, s6
	v_cvt_f32_f64_e32 v7, v[32:33]
	s_wait_alu 0xf1ff
	v_add_co_ci_u32_e64 v1, s0, s7, v1, s0
	v_cvt_f32_f64_e32 v11, v[56:57]
	scratch_load_b64 v[56:57], off, off offset:16 th:TH_LOAD_LU ; 8-byte Folded Reload
	v_add_co_u32 v14, s0, v0, s6
	s_wait_alu 0xf1ff
	v_add_co_ci_u32_e64 v15, s0, s7, v1, s0
	v_cvt_f32_f64_e32 v18, v[60:61]
	scratch_load_b64 v[61:62], off, off offset:24 th:TH_LOAD_LU ; 8-byte Folded Reload
	v_cvt_f32_f64_e32 v10, v[36:37]
	scratch_load_b64 v[59:60], off, off offset:56 th:TH_LOAD_LU ; 8-byte Folded Reload
	v_cvt_f32_f64_e32 v19, v[40:41]
	v_add_co_u32 v22, s0, v14, s6
	s_wait_alu 0xf1ff
	v_add_co_ci_u32_e64 v23, s0, s7, v15, s0
	v_cvt_f32_f64_e32 v29, v[66:67]
	scratch_load_b64 v[66:67], off, off th:TH_LOAD_LU ; 8-byte Folded Reload
	global_store_b64 v[0:1], v[6:7], off
	v_add_co_u32 v0, s0, v22, s6
	s_wait_alu 0xf1ff
	v_add_co_ci_u32_e64 v1, s0, s7, v23, s0
	s_wait_loadcnt 0x5
	v_mul_f32_e32 v72, v74, v5
	v_mul_f32_e32 v28, v74, v4
	s_delay_alu instid0(VALU_DEP_2) | instskip(SKIP_1) | instid1(VALU_DEP_3)
	v_fmac_f32_e32 v72, v73, v4
	v_cvt_f32_f64_e32 v4, v[48:49]
	v_fma_f32 v36, v73, v5, -v28
	v_cvt_f32_f64_e32 v5, v[54:55]
	v_cvt_f32_f64_e32 v28, v[64:65]
	v_cvt_f64_f32_e32 v[68:69], v72
	s_delay_alu instid0(VALU_DEP_4) | instskip(NEXT) | instid1(VALU_DEP_2)
	v_cvt_f64_f32_e32 v[36:37], v36
	v_mul_f64_e32 v[32:33], s[2:3], v[68:69]
	scratch_load_b64 v[68:69], off, off offset:8 th:TH_LOAD_LU ; 8-byte Folded Reload
	v_mul_f64_e32 v[36:37], s[2:3], v[36:37]
	s_wait_loadcnt 0x4
	v_mul_f32_e32 v48, v57, v17
	s_delay_alu instid0(VALU_DEP_1)
	v_fmac_f32_e32 v48, v56, v16
	v_mul_f32_e32 v16, v57, v16
	s_clause 0x1
	scratch_load_b64 v[57:58], off, off offset:48 th:TH_LOAD_LU
	scratch_load_b64 v[63:64], off, off offset:32 th:TH_LOAD_LU
	v_mul_f32_e32 v40, v53, v9
	v_mul_f32_e32 v41, v53, v8
	scratch_load_b64 v[53:54], off, off offset:64 th:TH_LOAD_LU ; 8-byte Folded Reload
	v_fma_f32 v16, v56, v17, -v16
	v_cvt_f64_f32_e32 v[48:49], v48
	v_fmac_f32_e32 v40, v52, v8
	v_fma_f32 v41, v52, v9, -v41
	s_wait_loadcnt 0x5
	v_mul_f32_e32 v52, v60, v21
	v_cvt_f64_f32_e32 v[16:17], v16
	v_cvt_f64_f32_e32 v[8:9], v40
	s_delay_alu instid0(VALU_DEP_3) | instskip(NEXT) | instid1(VALU_DEP_2)
	v_fmac_f32_e32 v52, v59, v20
	v_mul_f64_e32 v[6:7], s[2:3], v[8:9]
	s_delay_alu instid0(VALU_DEP_1)
	v_cvt_f32_f64_e32 v6, v[6:7]
	s_wait_loadcnt 0x1
	v_dual_mul_f32 v55, v58, v30 :: v_dual_mul_f32 v56, v64, v35
	s_wait_loadcnt 0x0
	v_mul_f32_e32 v44, v54, v13
	v_mul_f32_e32 v45, v54, v12
	;; [unrolled: 1-line block ×3, first 2 shown]
	v_fma_f32 v55, v57, v31, -v55
	v_mul_f32_e32 v58, v62, v39
	v_fmac_f32_e32 v44, v53, v12
	v_fma_f32 v45, v53, v13, -v45
	v_dual_mul_f32 v53, v60, v20 :: v_dual_mul_f32 v60, v69, v43
	v_cvt_f64_f32_e32 v[12:13], v41
	s_delay_alu instid0(VALU_DEP_4) | instskip(NEXT) | instid1(VALU_DEP_4)
	v_cvt_f64_f32_e32 v[40:41], v44
	v_cvt_f64_f32_e32 v[44:45], v45
	s_delay_alu instid0(VALU_DEP_4)
	v_fma_f32 v53, v59, v21, -v53
	v_fmac_f32_e32 v60, v68, v42
	v_mul_f32_e32 v42, v69, v42
	scratch_load_b64 v[69:70], off, off offset:80 th:TH_LOAD_LU ; 8-byte Folded Reload
	v_fmac_f32_e32 v54, v57, v30
	v_cvt_f64_f32_e32 v[20:21], v52
	v_cvt_f64_f32_e32 v[30:31], v53
	v_mul_f32_e32 v57, v64, v34
	v_mul_f32_e32 v59, v62, v38
	v_fmac_f32_e32 v56, v63, v34
	v_mul_f32_e32 v62, v67, v47
	v_fmac_f32_e32 v58, v61, v38
	v_fma_f32 v57, v63, v35, -v57
	v_mul_f32_e32 v63, v67, v46
	v_fma_f32 v59, v61, v39, -v59
	v_fma_f32 v42, v68, v43, -v42
	v_fmac_f32_e32 v62, v66, v46
	v_cvt_f64_f32_e32 v[52:53], v54
	v_fma_f32 v63, v66, v47, -v63
	v_cvt_f64_f32_e32 v[54:55], v55
	v_cvt_f64_f32_e32 v[34:35], v56
	;; [unrolled: 1-line block ×8, first 2 shown]
	v_mul_f64_e32 v[8:9], s[2:3], v[12:13]
	v_add_co_u32 v12, s0, v0, s6
	s_wait_alu 0xf1ff
	v_add_co_ci_u32_e64 v13, s0, s7, v1, s0
	v_mul_f64_e32 v[40:41], s[2:3], v[40:41]
	v_mul_f64_e32 v[44:45], s[2:3], v[44:45]
	global_store_b64 v[14:15], v[10:11], off
	global_store_b64 v[22:23], v[18:19], off
	;; [unrolled: 1-line block ×4, first 2 shown]
	v_mul_f64_e32 v[0:1], s[2:3], v[48:49]
	v_mul_f64_e32 v[4:5], s[2:3], v[16:17]
	;; [unrolled: 1-line block ×4, first 2 shown]
	v_cvt_f32_f64_e32 v16, v[32:33]
	v_cvt_f32_f64_e32 v17, v[36:37]
	s_movk_i32 s0, 0xfb55
	s_mov_b32 s1, -1
	s_wait_alu 0xfffe
	s_mul_u64 s[0:1], s[4:5], s[0:1]
	s_wait_alu 0xfffe
	s_lshl_b64 s[8:9], s[0:1], 3
	v_mul_f64_e32 v[18:19], s[2:3], v[52:53]
	s_wait_alu 0xfffe
	v_add_co_u32 v12, s0, v12, s8
	v_mul_f64_e32 v[20:21], s[2:3], v[54:55]
	v_mul_f64_e32 v[22:23], s[2:3], v[34:35]
	;; [unrolled: 1-line block ×8, first 2 shown]
	s_wait_alu 0xf1ff
	v_add_co_ci_u32_e64 v13, s0, s9, v13, s0
	v_cvt_f32_f64_e32 v7, v[8:9]
	v_add_co_u32 v8, s0, v12, s6
	s_wait_alu 0xf1ff
	s_delay_alu instid0(VALU_DEP_3)
	v_add_co_ci_u32_e64 v9, s0, s7, v13, s0
	v_cvt_f32_f64_e32 v36, v[40:41]
	v_cvt_f32_f64_e32 v37, v[44:45]
	v_add_co_u32 v40, s0, v8, s6
	v_cvt_f32_f64_e32 v0, v[0:1]
	v_cvt_f32_f64_e32 v1, v[4:5]
	;; [unrolled: 1-line block ×4, first 2 shown]
	s_wait_alu 0xf1ff
	v_add_co_ci_u32_e64 v41, s0, s7, v9, s0
	v_add_co_u32 v10, s0, v40, s6
	global_store_b64 v[12:13], v[16:17], off
	s_wait_alu 0xf1ff
	v_add_co_ci_u32_e64 v11, s0, s7, v41, s0
	v_cvt_f32_f64_e32 v14, v[18:19]
	v_cvt_f32_f64_e32 v15, v[20:21]
	;; [unrolled: 1-line block ×6, first 2 shown]
	v_add_co_u32 v32, s0, v10, s6
	v_cvt_f32_f64_e32 v22, v[34:35]
	v_cvt_f32_f64_e32 v23, v[38:39]
	;; [unrolled: 1-line block ×3, first 2 shown]
	s_wait_alu 0xf1ff
	v_add_co_ci_u32_e64 v33, s0, s7, v11, s0
	v_add_co_u32 v12, s0, v32, s6
	s_wait_alu 0xf1ff
	s_delay_alu instid0(VALU_DEP_2)
	v_add_co_ci_u32_e64 v13, s0, s7, v33, s0
	global_store_b64 v[8:9], v[6:7], off
	v_add_co_u32 v6, s0, v12, s6
	s_wait_alu 0xf1ff
	v_add_co_ci_u32_e64 v7, s0, s7, v13, s0
	global_store_b64 v[40:41], v[36:37], off
	v_add_co_u32 v8, s0, v6, s6
	s_wait_alu 0xf1ff
	;; [unrolled: 4-line block ×4, first 2 shown]
	v_add_co_ci_u32_e64 v5, s0, s7, v11, s0
	s_delay_alu instid0(VALU_DEP_2) | instskip(SKIP_1) | instid1(VALU_DEP_2)
	v_add_co_u32 v0, s0, v4, s6
	s_wait_alu 0xf1ff
	v_add_co_ci_u32_e64 v1, s0, s7, v5, s0
	global_store_b64 v[12:13], v[14:15], off
	s_wait_loadcnt 0x0
	v_mul_f32_e32 v64, v70, v51
	v_mul_f32_e32 v65, v70, v50
	s_delay_alu instid0(VALU_DEP_2) | instskip(NEXT) | instid1(VALU_DEP_2)
	v_fmac_f32_e32 v64, v69, v50
	v_fma_f32 v65, v69, v51, -v65
	v_cvt_f64_f32_e32 v[50:51], v63
	s_delay_alu instid0(VALU_DEP_3) | instskip(NEXT) | instid1(VALU_DEP_3)
	v_cvt_f64_f32_e32 v[62:63], v64
	v_cvt_f64_f32_e32 v[64:65], v65
	s_delay_alu instid0(VALU_DEP_3) | instskip(NEXT) | instid1(VALU_DEP_3)
	v_mul_f64_e32 v[46:47], s[2:3], v[50:51]
	v_mul_f64_e32 v[48:49], s[2:3], v[62:63]
	s_delay_alu instid0(VALU_DEP_3) | instskip(NEXT) | instid1(VALU_DEP_3)
	v_mul_f64_e32 v[50:51], s[2:3], v[64:65]
	v_cvt_f32_f64_e32 v29, v[46:47]
	s_delay_alu instid0(VALU_DEP_3) | instskip(NEXT) | instid1(VALU_DEP_3)
	v_cvt_f32_f64_e32 v30, v[48:49]
	v_cvt_f32_f64_e32 v31, v[50:51]
	global_store_b64 v[6:7], v[18:19], off
	global_store_b64 v[8:9], v[20:21], off
	;; [unrolled: 1-line block ×5, first 2 shown]
	s_and_b32 exec_lo, exec_lo, vcc_lo
	s_cbranch_execz .LBB0_15
; %bb.14:
	global_load_b64 v[8:9], v[178:179], off offset:880
	ds_load_2addr_b64 v[4:7], v227 offset0:110 offset1:235
	v_add_co_u32 v0, vcc_lo, v0, s8
	s_wait_alu 0xfffd
	v_add_co_ci_u32_e32 v1, vcc_lo, s9, v1, vcc_lo
	s_wait_loadcnt_dscnt 0x0
	v_mul_f32_e32 v10, v5, v9
	v_mul_f32_e32 v9, v4, v9
	s_delay_alu instid0(VALU_DEP_2) | instskip(NEXT) | instid1(VALU_DEP_2)
	v_fmac_f32_e32 v10, v4, v8
	v_fma_f32 v8, v8, v5, -v9
	s_delay_alu instid0(VALU_DEP_2) | instskip(NEXT) | instid1(VALU_DEP_2)
	v_cvt_f64_f32_e32 v[4:5], v10
	v_cvt_f64_f32_e32 v[8:9], v8
	s_delay_alu instid0(VALU_DEP_2) | instskip(NEXT) | instid1(VALU_DEP_2)
	v_mul_f64_e32 v[4:5], s[2:3], v[4:5]
	v_mul_f64_e32 v[8:9], s[2:3], v[8:9]
	s_delay_alu instid0(VALU_DEP_2) | instskip(NEXT) | instid1(VALU_DEP_2)
	v_cvt_f32_f64_e32 v4, v[4:5]
	v_cvt_f32_f64_e32 v5, v[8:9]
	global_store_b64 v[0:1], v[4:5], off
	global_load_b64 v[4:5], v[178:179], off offset:1880
	v_add_co_u32 v0, vcc_lo, v0, s6
	s_wait_alu 0xfffd
	v_add_co_ci_u32_e32 v1, vcc_lo, s7, v1, vcc_lo
	s_wait_loadcnt 0x0
	v_mul_f32_e32 v8, v7, v5
	v_mul_f32_e32 v5, v6, v5
	s_delay_alu instid0(VALU_DEP_2) | instskip(NEXT) | instid1(VALU_DEP_2)
	v_fmac_f32_e32 v8, v6, v4
	v_fma_f32 v6, v4, v7, -v5
	s_delay_alu instid0(VALU_DEP_2) | instskip(NEXT) | instid1(VALU_DEP_2)
	v_cvt_f64_f32_e32 v[4:5], v8
	v_cvt_f64_f32_e32 v[6:7], v6
	s_delay_alu instid0(VALU_DEP_2) | instskip(NEXT) | instid1(VALU_DEP_2)
	v_mul_f64_e32 v[4:5], s[2:3], v[4:5]
	v_mul_f64_e32 v[6:7], s[2:3], v[6:7]
	s_delay_alu instid0(VALU_DEP_2) | instskip(NEXT) | instid1(VALU_DEP_2)
	v_cvt_f32_f64_e32 v4, v[4:5]
	v_cvt_f32_f64_e32 v5, v[6:7]
	global_store_b64 v[0:1], v[4:5], off
	global_load_b64 v[8:9], v[178:179], off offset:2880
	ds_load_2addr_b64 v[4:7], v27 offset0:104 offset1:229
	v_add_co_u32 v0, vcc_lo, v0, s6
	s_wait_alu 0xfffd
	v_add_co_ci_u32_e32 v1, vcc_lo, s7, v1, vcc_lo
	s_wait_loadcnt_dscnt 0x0
	v_mul_f32_e32 v10, v5, v9
	v_mul_f32_e32 v9, v4, v9
	s_delay_alu instid0(VALU_DEP_2) | instskip(NEXT) | instid1(VALU_DEP_2)
	v_fmac_f32_e32 v10, v4, v8
	v_fma_f32 v8, v8, v5, -v9
	s_delay_alu instid0(VALU_DEP_2) | instskip(NEXT) | instid1(VALU_DEP_2)
	v_cvt_f64_f32_e32 v[4:5], v10
	v_cvt_f64_f32_e32 v[8:9], v8
	s_delay_alu instid0(VALU_DEP_2) | instskip(NEXT) | instid1(VALU_DEP_2)
	v_mul_f64_e32 v[4:5], s[2:3], v[4:5]
	v_mul_f64_e32 v[8:9], s[2:3], v[8:9]
	s_delay_alu instid0(VALU_DEP_2) | instskip(NEXT) | instid1(VALU_DEP_2)
	v_cvt_f32_f64_e32 v4, v[4:5]
	v_cvt_f32_f64_e32 v5, v[8:9]
	global_store_b64 v[0:1], v[4:5], off
	global_load_b64 v[4:5], v[178:179], off offset:3880
	v_add_co_u32 v0, vcc_lo, v0, s6
	s_wait_alu 0xfffd
	v_add_co_ci_u32_e32 v1, vcc_lo, s7, v1, vcc_lo
	s_wait_loadcnt 0x0
	v_mul_f32_e32 v8, v7, v5
	v_mul_f32_e32 v5, v6, v5
	s_delay_alu instid0(VALU_DEP_2) | instskip(NEXT) | instid1(VALU_DEP_2)
	v_fmac_f32_e32 v8, v6, v4
	v_fma_f32 v6, v4, v7, -v5
	s_delay_alu instid0(VALU_DEP_2) | instskip(NEXT) | instid1(VALU_DEP_2)
	v_cvt_f64_f32_e32 v[4:5], v8
	v_cvt_f64_f32_e32 v[6:7], v6
	s_delay_alu instid0(VALU_DEP_2) | instskip(NEXT) | instid1(VALU_DEP_2)
	v_mul_f64_e32 v[4:5], s[2:3], v[4:5]
	v_mul_f64_e32 v[6:7], s[2:3], v[6:7]
	s_delay_alu instid0(VALU_DEP_2) | instskip(NEXT) | instid1(VALU_DEP_2)
	v_cvt_f32_f64_e32 v4, v[4:5]
	v_cvt_f32_f64_e32 v5, v[6:7]
	global_store_b64 v[0:1], v[4:5], off
	;; [unrolled: 41-line block ×4, first 2 shown]
	global_load_b64 v[8:9], v[178:179], off offset:8880
	ds_load_2addr_b64 v[4:7], v24 offset0:86 offset1:211
	v_add_co_u32 v0, vcc_lo, v0, s6
	s_wait_alu 0xfffd
	v_add_co_ci_u32_e32 v1, vcc_lo, s7, v1, vcc_lo
	s_wait_loadcnt_dscnt 0x0
	v_mul_f32_e32 v10, v5, v9
	v_mul_f32_e32 v9, v4, v9
	s_delay_alu instid0(VALU_DEP_2) | instskip(NEXT) | instid1(VALU_DEP_2)
	v_fmac_f32_e32 v10, v4, v8
	v_fma_f32 v8, v8, v5, -v9
	s_delay_alu instid0(VALU_DEP_2) | instskip(NEXT) | instid1(VALU_DEP_2)
	v_cvt_f64_f32_e32 v[4:5], v10
	v_cvt_f64_f32_e32 v[8:9], v8
	s_delay_alu instid0(VALU_DEP_2) | instskip(NEXT) | instid1(VALU_DEP_2)
	v_mul_f64_e32 v[4:5], s[2:3], v[4:5]
	v_mul_f64_e32 v[8:9], s[2:3], v[8:9]
	s_delay_alu instid0(VALU_DEP_2) | instskip(NEXT) | instid1(VALU_DEP_2)
	v_cvt_f32_f64_e32 v4, v[4:5]
	v_cvt_f32_f64_e32 v5, v[8:9]
	global_store_b64 v[0:1], v[4:5], off
	global_load_b64 v[4:5], v[178:179], off offset:9880
	v_add_co_u32 v0, vcc_lo, v0, s6
	s_wait_alu 0xfffd
	v_add_co_ci_u32_e32 v1, vcc_lo, s7, v1, vcc_lo
	s_wait_loadcnt 0x0
	v_mul_f32_e32 v8, v7, v5
	v_mul_f32_e32 v5, v6, v5
	s_delay_alu instid0(VALU_DEP_2) | instskip(NEXT) | instid1(VALU_DEP_2)
	v_fmac_f32_e32 v8, v6, v4
	v_fma_f32 v6, v4, v7, -v5
	s_delay_alu instid0(VALU_DEP_2) | instskip(NEXT) | instid1(VALU_DEP_2)
	v_cvt_f64_f32_e32 v[4:5], v8
	v_cvt_f64_f32_e32 v[6:7], v6
	scratch_load_b32 v8, off, off offset:180 th:TH_LOAD_LU ; 4-byte Folded Reload
	v_mul_f64_e32 v[4:5], s[2:3], v[4:5]
	v_mul_f64_e32 v[6:7], s[2:3], v[6:7]
	s_delay_alu instid0(VALU_DEP_2) | instskip(NEXT) | instid1(VALU_DEP_2)
	v_cvt_f32_f64_e32 v4, v[4:5]
	v_cvt_f32_f64_e32 v5, v[6:7]
	global_store_b64 v[0:1], v[4:5], off
	global_load_b64 v[0:1], v[178:179], off offset:10880
	ds_load_b64 v[4:5], v227 offset:10880
	s_wait_loadcnt_dscnt 0x0
	v_mul_f32_e32 v6, v5, v1
	v_mul_f32_e32 v1, v4, v1
	s_delay_alu instid0(VALU_DEP_2) | instskip(NEXT) | instid1(VALU_DEP_2)
	v_fmac_f32_e32 v6, v4, v0
	v_fma_f32 v4, v0, v5, -v1
	s_delay_alu instid0(VALU_DEP_2) | instskip(NEXT) | instid1(VALU_DEP_2)
	v_cvt_f64_f32_e32 v[0:1], v6
	v_cvt_f64_f32_e32 v[4:5], v4
	v_mad_co_u64_u32 v[6:7], null, s4, v8, 0
	s_delay_alu instid0(VALU_DEP_3) | instskip(NEXT) | instid1(VALU_DEP_3)
	v_mul_f64_e32 v[0:1], s[2:3], v[0:1]
	v_mul_f64_e32 v[4:5], s[2:3], v[4:5]
	s_delay_alu instid0(VALU_DEP_2) | instskip(NEXT) | instid1(VALU_DEP_2)
	v_cvt_f32_f64_e32 v0, v[0:1]
	v_cvt_f32_f64_e32 v1, v[4:5]
	v_mov_b32_e32 v4, v7
	s_delay_alu instid0(VALU_DEP_1) | instskip(NEXT) | instid1(VALU_DEP_1)
	v_mad_co_u64_u32 v[4:5], null, s5, v8, v[4:5]
	v_mov_b32_e32 v7, v4
	s_delay_alu instid0(VALU_DEP_1) | instskip(NEXT) | instid1(VALU_DEP_1)
	v_lshlrev_b64_e32 v[4:5], 3, v[6:7]
	v_add_co_u32 v2, vcc_lo, v2, v4
	s_wait_alu 0xfffd
	s_delay_alu instid0(VALU_DEP_2)
	v_add_co_ci_u32_e32 v3, vcc_lo, v3, v5, vcc_lo
	global_store_b64 v[2:3], v[0:1], off
.LBB0_15:
	s_nop 0
	s_sendmsg sendmsg(MSG_DEALLOC_VGPRS)
	s_endpgm
	.section	.rodata,"a",@progbits
	.p2align	6, 0x0
	.amdhsa_kernel bluestein_single_back_len1375_dim1_sp_op_CI_CI
		.amdhsa_group_segment_fixed_size 11000
		.amdhsa_private_segment_fixed_size 192
		.amdhsa_kernarg_size 104
		.amdhsa_user_sgpr_count 2
		.amdhsa_user_sgpr_dispatch_ptr 0
		.amdhsa_user_sgpr_queue_ptr 0
		.amdhsa_user_sgpr_kernarg_segment_ptr 1
		.amdhsa_user_sgpr_dispatch_id 0
		.amdhsa_user_sgpr_private_segment_size 0
		.amdhsa_wavefront_size32 1
		.amdhsa_uses_dynamic_stack 0
		.amdhsa_enable_private_segment 1
		.amdhsa_system_sgpr_workgroup_id_x 1
		.amdhsa_system_sgpr_workgroup_id_y 0
		.amdhsa_system_sgpr_workgroup_id_z 0
		.amdhsa_system_sgpr_workgroup_info 0
		.amdhsa_system_vgpr_workitem_id 0
		.amdhsa_next_free_vgpr 256
		.amdhsa_next_free_sgpr 17
		.amdhsa_reserve_vcc 1
		.amdhsa_float_round_mode_32 0
		.amdhsa_float_round_mode_16_64 0
		.amdhsa_float_denorm_mode_32 3
		.amdhsa_float_denorm_mode_16_64 3
		.amdhsa_fp16_overflow 0
		.amdhsa_workgroup_processor_mode 1
		.amdhsa_memory_ordered 1
		.amdhsa_forward_progress 0
		.amdhsa_round_robin_scheduling 0
		.amdhsa_exception_fp_ieee_invalid_op 0
		.amdhsa_exception_fp_denorm_src 0
		.amdhsa_exception_fp_ieee_div_zero 0
		.amdhsa_exception_fp_ieee_overflow 0
		.amdhsa_exception_fp_ieee_underflow 0
		.amdhsa_exception_fp_ieee_inexact 0
		.amdhsa_exception_int_div_zero 0
	.end_amdhsa_kernel
	.text
.Lfunc_end0:
	.size	bluestein_single_back_len1375_dim1_sp_op_CI_CI, .Lfunc_end0-bluestein_single_back_len1375_dim1_sp_op_CI_CI
                                        ; -- End function
	.section	.AMDGPU.csdata,"",@progbits
; Kernel info:
; codeLenInByte = 38968
; NumSgprs: 19
; NumVgprs: 256
; ScratchSize: 192
; MemoryBound: 0
; FloatMode: 240
; IeeeMode: 1
; LDSByteSize: 11000 bytes/workgroup (compile time only)
; SGPRBlocks: 2
; VGPRBlocks: 31
; NumSGPRsForWavesPerEU: 19
; NumVGPRsForWavesPerEU: 256
; Occupancy: 5
; WaveLimiterHint : 1
; COMPUTE_PGM_RSRC2:SCRATCH_EN: 1
; COMPUTE_PGM_RSRC2:USER_SGPR: 2
; COMPUTE_PGM_RSRC2:TRAP_HANDLER: 0
; COMPUTE_PGM_RSRC2:TGID_X_EN: 1
; COMPUTE_PGM_RSRC2:TGID_Y_EN: 0
; COMPUTE_PGM_RSRC2:TGID_Z_EN: 0
; COMPUTE_PGM_RSRC2:TIDIG_COMP_CNT: 0
	.text
	.p2alignl 7, 3214868480
	.fill 96, 4, 3214868480
	.type	__hip_cuid_e68043d9e11b4cf4,@object ; @__hip_cuid_e68043d9e11b4cf4
	.section	.bss,"aw",@nobits
	.globl	__hip_cuid_e68043d9e11b4cf4
__hip_cuid_e68043d9e11b4cf4:
	.byte	0                               ; 0x0
	.size	__hip_cuid_e68043d9e11b4cf4, 1

	.ident	"AMD clang version 19.0.0git (https://github.com/RadeonOpenCompute/llvm-project roc-6.4.0 25133 c7fe45cf4b819c5991fe208aaa96edf142730f1d)"
	.section	".note.GNU-stack","",@progbits
	.addrsig
	.addrsig_sym __hip_cuid_e68043d9e11b4cf4
	.amdgpu_metadata
---
amdhsa.kernels:
  - .args:
      - .actual_access:  read_only
        .address_space:  global
        .offset:         0
        .size:           8
        .value_kind:     global_buffer
      - .actual_access:  read_only
        .address_space:  global
        .offset:         8
        .size:           8
        .value_kind:     global_buffer
      - .actual_access:  read_only
        .address_space:  global
        .offset:         16
        .size:           8
        .value_kind:     global_buffer
      - .actual_access:  read_only
        .address_space:  global
        .offset:         24
        .size:           8
        .value_kind:     global_buffer
      - .actual_access:  read_only
        .address_space:  global
        .offset:         32
        .size:           8
        .value_kind:     global_buffer
      - .offset:         40
        .size:           8
        .value_kind:     by_value
      - .address_space:  global
        .offset:         48
        .size:           8
        .value_kind:     global_buffer
      - .address_space:  global
        .offset:         56
        .size:           8
        .value_kind:     global_buffer
      - .address_space:  global
        .offset:         64
        .size:           8
        .value_kind:     global_buffer
      - .address_space:  global
        .offset:         72
        .size:           8
        .value_kind:     global_buffer
      - .offset:         80
        .size:           4
        .value_kind:     by_value
      - .address_space:  global
        .offset:         88
        .size:           8
        .value_kind:     global_buffer
      - .address_space:  global
        .offset:         96
        .size:           8
        .value_kind:     global_buffer
    .group_segment_fixed_size: 11000
    .kernarg_segment_align: 8
    .kernarg_segment_size: 104
    .language:       OpenCL C
    .language_version:
      - 2
      - 0
    .max_flat_workgroup_size: 55
    .name:           bluestein_single_back_len1375_dim1_sp_op_CI_CI
    .private_segment_fixed_size: 192
    .sgpr_count:     19
    .sgpr_spill_count: 0
    .symbol:         bluestein_single_back_len1375_dim1_sp_op_CI_CI.kd
    .uniform_work_group_size: 1
    .uses_dynamic_stack: false
    .vgpr_count:     256
    .vgpr_spill_count: 47
    .wavefront_size: 32
    .workgroup_processor_mode: 1
amdhsa.target:   amdgcn-amd-amdhsa--gfx1201
amdhsa.version:
  - 1
  - 2
...

	.end_amdgpu_metadata
